;; amdgpu-corpus repo=ROCm/rocFFT kind=compiled arch=gfx1030 opt=O3
	.text
	.amdgcn_target "amdgcn-amd-amdhsa--gfx1030"
	.amdhsa_code_object_version 6
	.protected	fft_rtc_back_len2250_factors_10_3_5_3_5_wgs_90_tpt_90_halfLds_sp_op_CI_CI_sbrr_dirReg ; -- Begin function fft_rtc_back_len2250_factors_10_3_5_3_5_wgs_90_tpt_90_halfLds_sp_op_CI_CI_sbrr_dirReg
	.globl	fft_rtc_back_len2250_factors_10_3_5_3_5_wgs_90_tpt_90_halfLds_sp_op_CI_CI_sbrr_dirReg
	.p2align	8
	.type	fft_rtc_back_len2250_factors_10_3_5_3_5_wgs_90_tpt_90_halfLds_sp_op_CI_CI_sbrr_dirReg,@function
fft_rtc_back_len2250_factors_10_3_5_3_5_wgs_90_tpt_90_halfLds_sp_op_CI_CI_sbrr_dirReg: ; @fft_rtc_back_len2250_factors_10_3_5_3_5_wgs_90_tpt_90_halfLds_sp_op_CI_CI_sbrr_dirReg
; %bb.0:
	s_clause 0x2
	s_load_dwordx4 s[16:19], s[4:5], 0x18
	s_load_dwordx4 s[12:15], s[4:5], 0x0
	;; [unrolled: 1-line block ×3, first 2 shown]
	v_mul_u32_u24_e32 v1, 0x2d9, v0
	v_mov_b32_e32 v5, 0
	v_mov_b32_e32 v65, 0
	;; [unrolled: 1-line block ×3, first 2 shown]
	s_waitcnt lgkmcnt(0)
	s_load_dwordx2 s[20:21], s[16:17], 0x0
	s_load_dwordx2 s[2:3], s[18:19], 0x0
	v_cmp_lt_u64_e64 s0, s[14:15], 2
	v_add_nc_u32_sdwa v7, s6, v1 dst_sel:DWORD dst_unused:UNUSED_PAD src0_sel:DWORD src1_sel:WORD_1
	v_mov_b32_e32 v8, v5
	s_and_b32 vcc_lo, exec_lo, s0
	s_cbranch_vccnz .LBB0_8
; %bb.1:
	s_load_dwordx2 s[0:1], s[4:5], 0x10
	v_mov_b32_e32 v65, 0
	v_mov_b32_e32 v66, 0
	s_add_u32 s6, s18, 8
	s_addc_u32 s7, s19, 0
	v_mov_b32_e32 v1, v65
	s_add_u32 s22, s16, 8
	v_mov_b32_e32 v2, v66
	s_addc_u32 s23, s17, 0
	s_mov_b64 s[26:27], 1
	s_waitcnt lgkmcnt(0)
	s_add_u32 s24, s0, 8
	s_addc_u32 s25, s1, 0
.LBB0_2:                                ; =>This Inner Loop Header: Depth=1
	s_load_dwordx2 s[28:29], s[24:25], 0x0
                                        ; implicit-def: $vgpr3_vgpr4
	s_mov_b32 s0, exec_lo
	s_waitcnt lgkmcnt(0)
	v_or_b32_e32 v6, s29, v8
	v_cmpx_ne_u64_e32 0, v[5:6]
	s_xor_b32 s1, exec_lo, s0
	s_cbranch_execz .LBB0_4
; %bb.3:                                ;   in Loop: Header=BB0_2 Depth=1
	v_cvt_f32_u32_e32 v3, s28
	v_cvt_f32_u32_e32 v4, s29
	s_sub_u32 s0, 0, s28
	s_subb_u32 s30, 0, s29
	v_fmac_f32_e32 v3, 0x4f800000, v4
	v_rcp_f32_e32 v3, v3
	v_mul_f32_e32 v3, 0x5f7ffffc, v3
	v_mul_f32_e32 v4, 0x2f800000, v3
	v_trunc_f32_e32 v4, v4
	v_fmac_f32_e32 v3, 0xcf800000, v4
	v_cvt_u32_f32_e32 v4, v4
	v_cvt_u32_f32_e32 v3, v3
	v_mul_lo_u32 v6, s0, v4
	v_mul_hi_u32 v9, s0, v3
	v_mul_lo_u32 v10, s30, v3
	v_add_nc_u32_e32 v6, v9, v6
	v_mul_lo_u32 v9, s0, v3
	v_add_nc_u32_e32 v6, v6, v10
	v_mul_hi_u32 v10, v3, v9
	v_mul_lo_u32 v11, v3, v6
	v_mul_hi_u32 v12, v3, v6
	v_mul_hi_u32 v13, v4, v9
	v_mul_lo_u32 v9, v4, v9
	v_mul_hi_u32 v14, v4, v6
	v_mul_lo_u32 v6, v4, v6
	v_add_co_u32 v10, vcc_lo, v10, v11
	v_add_co_ci_u32_e32 v11, vcc_lo, 0, v12, vcc_lo
	v_add_co_u32 v9, vcc_lo, v10, v9
	v_add_co_ci_u32_e32 v9, vcc_lo, v11, v13, vcc_lo
	v_add_co_ci_u32_e32 v10, vcc_lo, 0, v14, vcc_lo
	v_add_co_u32 v6, vcc_lo, v9, v6
	v_add_co_ci_u32_e32 v9, vcc_lo, 0, v10, vcc_lo
	v_add_co_u32 v3, vcc_lo, v3, v6
	v_add_co_ci_u32_e32 v4, vcc_lo, v4, v9, vcc_lo
	v_mul_hi_u32 v6, s0, v3
	v_mul_lo_u32 v10, s30, v3
	v_mul_lo_u32 v9, s0, v4
	v_add_nc_u32_e32 v6, v6, v9
	v_mul_lo_u32 v9, s0, v3
	v_add_nc_u32_e32 v6, v6, v10
	v_mul_hi_u32 v10, v3, v9
	v_mul_lo_u32 v11, v3, v6
	v_mul_hi_u32 v12, v3, v6
	v_mul_hi_u32 v13, v4, v9
	v_mul_lo_u32 v9, v4, v9
	v_mul_hi_u32 v14, v4, v6
	v_mul_lo_u32 v6, v4, v6
	v_add_co_u32 v10, vcc_lo, v10, v11
	v_add_co_ci_u32_e32 v11, vcc_lo, 0, v12, vcc_lo
	v_add_co_u32 v9, vcc_lo, v10, v9
	v_add_co_ci_u32_e32 v9, vcc_lo, v11, v13, vcc_lo
	v_add_co_ci_u32_e32 v10, vcc_lo, 0, v14, vcc_lo
	v_add_co_u32 v6, vcc_lo, v9, v6
	v_add_co_ci_u32_e32 v9, vcc_lo, 0, v10, vcc_lo
	v_add_co_u32 v6, vcc_lo, v3, v6
	v_add_co_ci_u32_e32 v11, vcc_lo, v4, v9, vcc_lo
	v_mul_hi_u32 v13, v7, v6
	v_mad_u64_u32 v[9:10], null, v8, v6, 0
	v_mad_u64_u32 v[3:4], null, v7, v11, 0
	v_mad_u64_u32 v[11:12], null, v8, v11, 0
	v_add_co_u32 v3, vcc_lo, v13, v3
	v_add_co_ci_u32_e32 v4, vcc_lo, 0, v4, vcc_lo
	v_add_co_u32 v3, vcc_lo, v3, v9
	v_add_co_ci_u32_e32 v3, vcc_lo, v4, v10, vcc_lo
	v_add_co_ci_u32_e32 v4, vcc_lo, 0, v12, vcc_lo
	v_add_co_u32 v6, vcc_lo, v3, v11
	v_add_co_ci_u32_e32 v9, vcc_lo, 0, v4, vcc_lo
	v_mul_lo_u32 v10, s29, v6
	v_mad_u64_u32 v[3:4], null, s28, v6, 0
	v_mul_lo_u32 v11, s28, v9
	v_sub_co_u32 v3, vcc_lo, v7, v3
	v_add3_u32 v4, v4, v11, v10
	v_sub_nc_u32_e32 v10, v8, v4
	v_subrev_co_ci_u32_e64 v10, s0, s29, v10, vcc_lo
	v_add_co_u32 v11, s0, v6, 2
	v_add_co_ci_u32_e64 v12, s0, 0, v9, s0
	v_sub_co_u32 v13, s0, v3, s28
	v_sub_co_ci_u32_e32 v4, vcc_lo, v8, v4, vcc_lo
	v_subrev_co_ci_u32_e64 v10, s0, 0, v10, s0
	v_cmp_le_u32_e32 vcc_lo, s28, v13
	v_cmp_eq_u32_e64 s0, s29, v4
	v_cndmask_b32_e64 v13, 0, -1, vcc_lo
	v_cmp_le_u32_e32 vcc_lo, s29, v10
	v_cndmask_b32_e64 v14, 0, -1, vcc_lo
	v_cmp_le_u32_e32 vcc_lo, s28, v3
	;; [unrolled: 2-line block ×3, first 2 shown]
	v_cndmask_b32_e64 v15, 0, -1, vcc_lo
	v_cmp_eq_u32_e32 vcc_lo, s29, v10
	v_cndmask_b32_e64 v3, v15, v3, s0
	v_cndmask_b32_e32 v10, v14, v13, vcc_lo
	v_add_co_u32 v13, vcc_lo, v6, 1
	v_add_co_ci_u32_e32 v14, vcc_lo, 0, v9, vcc_lo
	v_cmp_ne_u32_e32 vcc_lo, 0, v10
	v_cndmask_b32_e32 v4, v14, v12, vcc_lo
	v_cndmask_b32_e32 v10, v13, v11, vcc_lo
	v_cmp_ne_u32_e32 vcc_lo, 0, v3
	v_cndmask_b32_e32 v4, v9, v4, vcc_lo
	v_cndmask_b32_e32 v3, v6, v10, vcc_lo
.LBB0_4:                                ;   in Loop: Header=BB0_2 Depth=1
	s_andn2_saveexec_b32 s0, s1
	s_cbranch_execz .LBB0_6
; %bb.5:                                ;   in Loop: Header=BB0_2 Depth=1
	v_cvt_f32_u32_e32 v3, s28
	s_sub_i32 s1, 0, s28
	v_rcp_iflag_f32_e32 v3, v3
	v_mul_f32_e32 v3, 0x4f7ffffe, v3
	v_cvt_u32_f32_e32 v3, v3
	v_mul_lo_u32 v4, s1, v3
	v_mul_hi_u32 v4, v3, v4
	v_add_nc_u32_e32 v3, v3, v4
	v_mul_hi_u32 v3, v7, v3
	v_mul_lo_u32 v4, v3, s28
	v_add_nc_u32_e32 v6, 1, v3
	v_sub_nc_u32_e32 v4, v7, v4
	v_subrev_nc_u32_e32 v9, s28, v4
	v_cmp_le_u32_e32 vcc_lo, s28, v4
	v_cndmask_b32_e32 v4, v4, v9, vcc_lo
	v_cndmask_b32_e32 v3, v3, v6, vcc_lo
	v_cmp_le_u32_e32 vcc_lo, s28, v4
	v_add_nc_u32_e32 v6, 1, v3
	v_mov_b32_e32 v4, v5
	v_cndmask_b32_e32 v3, v3, v6, vcc_lo
.LBB0_6:                                ;   in Loop: Header=BB0_2 Depth=1
	s_or_b32 exec_lo, exec_lo, s0
	v_mul_lo_u32 v6, v4, s28
	v_mul_lo_u32 v11, v3, s29
	s_load_dwordx2 s[0:1], s[22:23], 0x0
	v_mad_u64_u32 v[9:10], null, v3, s28, 0
	s_load_dwordx2 s[28:29], s[6:7], 0x0
	s_add_u32 s26, s26, 1
	s_addc_u32 s27, s27, 0
	s_add_u32 s6, s6, 8
	s_addc_u32 s7, s7, 0
	s_add_u32 s22, s22, 8
	v_add3_u32 v6, v10, v11, v6
	v_sub_co_u32 v7, vcc_lo, v7, v9
	s_addc_u32 s23, s23, 0
	s_add_u32 s24, s24, 8
	v_sub_co_ci_u32_e32 v6, vcc_lo, v8, v6, vcc_lo
	s_addc_u32 s25, s25, 0
	s_waitcnt lgkmcnt(0)
	v_mul_lo_u32 v8, s0, v6
	v_mul_lo_u32 v9, s1, v7
	v_mad_u64_u32 v[65:66], null, s0, v7, v[65:66]
	v_mul_lo_u32 v6, s28, v6
	v_mul_lo_u32 v10, s29, v7
	v_mad_u64_u32 v[1:2], null, s28, v7, v[1:2]
	v_cmp_ge_u64_e64 s0, s[26:27], s[14:15]
	v_add3_u32 v66, v9, v66, v8
	v_add3_u32 v2, v10, v2, v6
	s_and_b32 vcc_lo, exec_lo, s0
	s_cbranch_vccnz .LBB0_9
; %bb.7:                                ;   in Loop: Header=BB0_2 Depth=1
	v_mov_b32_e32 v8, v4
	v_mov_b32_e32 v7, v3
	s_branch .LBB0_2
.LBB0_8:
	v_mov_b32_e32 v1, v65
	v_mov_b32_e32 v3, v7
	;; [unrolled: 1-line block ×4, first 2 shown]
.LBB0_9:
	s_load_dwordx2 s[0:1], s[4:5], 0x28
	v_mul_hi_u32 v5, 0x2d82d83, v0
	s_lshl_b64 s[6:7], s[14:15], 3
                                        ; implicit-def: $vgpr90
                                        ; implicit-def: $vgpr91
	s_add_u32 s4, s18, s6
	s_addc_u32 s5, s19, s7
	s_waitcnt lgkmcnt(0)
	v_cmp_gt_u64_e32 vcc_lo, s[0:1], v[3:4]
	v_cmp_le_u64_e64 s0, s[0:1], v[3:4]
	s_and_saveexec_b32 s1, s0
	s_xor_b32 s0, exec_lo, s1
; %bb.10:
	v_mul_u32_u24_e32 v5, 0x5a, v5
                                        ; implicit-def: $vgpr65_vgpr66
	v_sub_nc_u32_e32 v90, v0, v5
                                        ; implicit-def: $vgpr5
                                        ; implicit-def: $vgpr0
	v_add_nc_u32_e32 v91, 0x5a, v90
; %bb.11:
	s_or_saveexec_b32 s1, s0
	s_load_dwordx2 s[4:5], s[4:5], 0x0
                                        ; implicit-def: $vgpr62
                                        ; implicit-def: $vgpr58
                                        ; implicit-def: $vgpr60
                                        ; implicit-def: $vgpr54
                                        ; implicit-def: $vgpr64
                                        ; implicit-def: $vgpr52
                                        ; implicit-def: $vgpr56
                                        ; implicit-def: $vgpr48
                                        ; implicit-def: $vgpr28
                                        ; implicit-def: $vgpr26
                                        ; implicit-def: $vgpr32
                                        ; implicit-def: $vgpr42
                                        ; implicit-def: $vgpr36
                                        ; implicit-def: $vgpr40
                                        ; implicit-def: $vgpr38
                                        ; implicit-def: $vgpr46
                                        ; implicit-def: $vgpr50
                                        ; implicit-def: $vgpr44
                                        ; implicit-def: $vgpr14
                                        ; implicit-def: $vgpr8
                                        ; implicit-def: $vgpr30
                                        ; implicit-def: $vgpr34
                                        ; implicit-def: $vgpr18
                                        ; implicit-def: $vgpr22
                                        ; implicit-def: $vgpr20
                                        ; implicit-def: $vgpr24
                                        ; implicit-def: $vgpr16
                                        ; implicit-def: $vgpr12
                                        ; implicit-def: $vgpr10
                                        ; implicit-def: $vgpr6
	s_xor_b32 exec_lo, exec_lo, s1
	s_cbranch_execz .LBB0_15
; %bb.12:
	s_add_u32 s6, s16, s6
	s_addc_u32 s7, s17, s7
	v_mul_u32_u24_e32 v5, 0x5a, v5
	s_load_dwordx2 s[6:7], s[6:7], 0x0
                                        ; implicit-def: $vgpr51
                                        ; implicit-def: $vgpr63
                                        ; implicit-def: $vgpr59
                                        ; implicit-def: $vgpr57
                                        ; implicit-def: $vgpr61
	v_sub_nc_u32_e32 v90, v0, v5
	v_lshlrev_b64 v[5:6], 3, v[65:66]
	v_mad_u64_u32 v[7:8], null, s20, v90, 0
	v_add_nc_u32_e32 v20, 0xe1, v90
	v_add_nc_u32_e32 v22, 0x1c2, v90
	;; [unrolled: 1-line block ×5, first 2 shown]
	v_mad_u64_u32 v[9:10], null, s20, v20, 0
	v_mov_b32_e32 v0, v8
	v_mad_u64_u32 v[11:12], null, s20, v22, 0
	s_waitcnt lgkmcnt(0)
	v_mul_lo_u32 v8, s7, v3
	v_mul_lo_u32 v21, s6, v4
	v_mad_u64_u32 v[13:14], null, s6, v3, 0
	v_mad_u64_u32 v[15:16], null, s20, v23, 0
	;; [unrolled: 1-line block ×3, first 2 shown]
	v_mov_b32_e32 v0, v10
	v_mov_b32_e32 v10, v12
	v_add3_u32 v14, v14, v21, v8
	v_mad_u64_u32 v[18:19], null, s20, v24, 0
	v_mad_u64_u32 v[20:21], null, s21, v20, v[0:1]
	v_lshlrev_b64 v[13:14], 3, v[13:14]
	v_mov_b32_e32 v12, v16
	v_mov_b32_e32 v8, v17
	v_mad_u64_u32 v[16:17], null, s21, v22, v[10:11]
	v_add_nc_u32_e32 v17, 0x465, v90
	v_add_co_u32 v0, s0, s8, v13
	v_mad_u64_u32 v[21:22], null, s21, v23, v[12:13]
	v_add_co_ci_u32_e64 v12, s0, s9, v14, s0
	v_mov_b32_e32 v10, v20
	v_lshlrev_b64 v[7:8], 3, v[7:8]
	v_add_co_u32 v0, s0, v0, v5
	v_add_co_ci_u32_e64 v52, s0, v12, v6, s0
	v_lshlrev_b64 v[5:6], 3, v[9:10]
	v_add_co_u32 v7, s0, v0, v7
	v_add_co_ci_u32_e64 v8, s0, v52, v8, s0
	v_mov_b32_e32 v12, v16
	v_add_co_u32 v9, s0, v0, v5
	v_mov_b32_e32 v5, v19
	v_mov_b32_e32 v16, v21
	v_add_co_ci_u32_e64 v10, s0, v52, v6, s0
	v_lshlrev_b64 v[11:12], 3, v[11:12]
	v_mad_u64_u32 v[5:6], null, s21, v24, v[5:6]
	v_mad_u64_u32 v[20:21], null, s20, v17, 0
	v_lshlrev_b64 v[13:14], 3, v[15:16]
	v_add_co_u32 v11, s0, v0, v11
	v_add_co_ci_u32_e64 v12, s0, v52, v12, s0
	v_mov_b32_e32 v19, v5
	v_mov_b32_e32 v5, v21
	v_add_co_u32 v13, s0, v0, v13
	v_add_co_ci_u32_e64 v14, s0, v52, v14, s0
	v_mad_u64_u32 v[24:25], null, s21, v17, v[5:6]
	s_clause 0x3
	global_load_dwordx2 v[5:6], v[7:8], off
	global_load_dwordx2 v[9:10], v[9:10], off
	;; [unrolled: 1-line block ×4, first 2 shown]
	v_mad_u64_u32 v[22:23], null, s20, v27, 0
	v_add_nc_u32_e32 v28, 0x627, v90
	v_lshlrev_b64 v[13:14], 3, v[18:19]
	v_add_nc_u32_e32 v31, 0x7e9, v90
	v_mov_b32_e32 v21, v24
	v_add_nc_u32_e32 v24, 0x708, v90
	v_mad_u64_u32 v[25:26], null, s20, v28, 0
	v_mov_b32_e32 v7, v23
	v_lshlrev_b64 v[19:20], 3, v[20:21]
	v_mad_u64_u32 v[17:18], null, s20, v24, 0
	v_add_nc_u32_e32 v91, 0x5a, v90
	v_mad_u64_u32 v[7:8], null, s21, v27, v[7:8]
	v_mov_b32_e32 v8, v26
	v_add_co_u32 v13, s0, v0, v13
	v_add_co_ci_u32_e64 v14, s0, v52, v14, s0
	v_add_co_u32 v19, s0, v0, v19
	v_mov_b32_e32 v23, v7
	v_mov_b32_e32 v7, v18
	v_add_co_ci_u32_e64 v20, s0, v52, v20, s0
	v_add_nc_u32_e32 v35, 0x13b, v90
	v_lshlrev_b64 v[21:22], 3, v[22:23]
	v_add_nc_u32_e32 v39, 0x2fd, v90
	v_add_nc_u32_e32 v41, 0x3de, v90
	;; [unrolled: 1-line block ×5, first 2 shown]
	v_add_co_u32 v21, s0, v0, v21
	v_add_co_ci_u32_e64 v22, s0, v52, v22, s0
	v_mad_u64_u32 v[37:38], null, s20, v41, 0
	v_add_nc_u32_e32 v48, 0x762, v90
	v_add_nc_u32_e32 v49, 0x843, v90
	s_mov_b32 s6, exec_lo
	s_waitcnt vmcnt(2)
	v_mad_u64_u32 v[26:27], null, s21, v28, v[8:9]
	v_mad_u64_u32 v[7:8], null, s21, v24, v[7:8]
	;; [unrolled: 1-line block ×3, first 2 shown]
	v_lshlrev_b64 v[23:24], 3, v[25:26]
	v_mad_u64_u32 v[25:26], null, s20, v31, 0
	v_mov_b32_e32 v18, v7
	v_add_co_u32 v7, s0, v0, v23
	v_lshlrev_b64 v[29:30], 3, v[17:18]
	v_mov_b32_e32 v23, v26
	v_mov_b32_e32 v17, v28
	v_add_co_ci_u32_e64 v8, s0, v52, v24, s0
	v_mad_u64_u32 v[31:32], null, s21, v31, v[23:24]
	v_mad_u64_u32 v[32:33], null, s21, v91, v[17:18]
	;; [unrolled: 1-line block ×3, first 2 shown]
	s_clause 0x3
	global_load_dwordx2 v[23:24], v[13:14], off
	global_load_dwordx2 v[19:20], v[19:20], off
	global_load_dwordx2 v[21:22], v[21:22], off
	global_load_dwordx2 v[17:18], v[7:8], off
	v_add_co_u32 v7, s0, v0, v29
	v_mov_b32_e32 v26, v31
	v_mov_b32_e32 v28, v32
	v_add_co_ci_u32_e64 v8, s0, v52, v30, s0
	v_mov_b32_e32 v13, v34
	v_add_nc_u32_e32 v30, 0x21c, v90
	v_lshlrev_b64 v[25:26], 3, v[25:26]
	v_lshlrev_b64 v[27:28], 3, v[27:28]
	v_mad_u64_u32 v[13:14], null, s21, v35, v[13:14]
	v_mad_u64_u32 v[31:32], null, s20, v30, 0
	v_add_co_u32 v25, s0, v0, v25
	v_add_co_ci_u32_e64 v26, s0, v52, v26, s0
	v_mov_b32_e32 v34, v13
	v_add_co_u32 v13, s0, v0, v27
	v_add_co_ci_u32_e64 v14, s0, v52, v28, s0
	v_lshlrev_b64 v[28:29], 3, v[33:34]
	v_mad_u64_u32 v[35:36], null, s20, v39, 0
	v_mov_b32_e32 v27, v32
	v_mad_u64_u32 v[32:33], null, s21, v30, v[27:28]
	v_add_co_u32 v27, s0, v0, v28
	v_add_co_ci_u32_e64 v28, s0, v52, v29, s0
	v_mov_b32_e32 v29, v36
	v_mad_u64_u32 v[39:40], null, s21, v39, v[29:30]
	s_clause 0x3
	global_load_dwordx2 v[33:34], v[7:8], off
	global_load_dwordx2 v[29:30], v[25:26], off
	global_load_dwordx2 v[7:8], v[13:14], off
	global_load_dwordx2 v[13:14], v[27:28], off
	v_lshlrev_b64 v[26:27], 3, v[31:32]
	v_mov_b32_e32 v25, v38
	v_mov_b32_e32 v36, v39
	v_mad_u64_u32 v[31:32], null, s21, v41, v[25:26]
	v_mad_u64_u32 v[39:40], null, s20, v42, 0
	v_add_co_u32 v25, s0, v0, v26
	v_add_co_ci_u32_e64 v26, s0, v52, v27, s0
	v_lshlrev_b64 v[27:28], 3, v[35:36]
	v_mov_b32_e32 v38, v31
	v_mov_b32_e32 v31, v40
	v_mad_u64_u32 v[35:36], null, s20, v43, 0
	v_add_co_u32 v27, s0, v0, v27
	v_mad_u64_u32 v[31:32], null, s21, v42, v[31:32]
	v_mad_u64_u32 v[41:42], null, s20, v45, 0
	v_mov_b32_e32 v32, v36
	v_lshlrev_b64 v[36:37], 3, v[37:38]
	v_add_co_ci_u32_e64 v28, s0, v52, v28, s0
	v_mov_b32_e32 v40, v31
	v_add_co_u32 v53, s0, v0, v36
	v_add_co_ci_u32_e64 v54, s0, v52, v37, s0
	v_lshlrev_b64 v[37:38], 3, v[39:40]
	v_add_co_u32 v37, s0, v0, v37
	v_add_co_ci_u32_e64 v38, s0, v52, v38, s0
	s_waitcnt vmcnt(3)
	v_mad_u64_u32 v[31:32], null, s21, v43, v[32:33]
	v_mov_b32_e32 v32, v42
	v_mad_u64_u32 v[43:44], null, s20, v48, 0
	v_mad_u64_u32 v[45:46], null, s21, v45, v[32:33]
	v_mad_u64_u32 v[46:47], null, s20, v49, 0
	v_mov_b32_e32 v32, v44
	v_mov_b32_e32 v36, v31
	v_mov_b32_e32 v42, v45
	v_mad_u64_u32 v[31:32], null, s21, v48, v[32:33]
	v_mov_b32_e32 v32, v47
	v_lshlrev_b64 v[35:36], 3, v[35:36]
	v_mad_u64_u32 v[39:40], null, s21, v49, v[32:33]
	v_mov_b32_e32 v44, v31
	v_lshlrev_b64 v[40:41], 3, v[41:42]
	v_add_co_u32 v31, s0, v0, v35
	v_add_co_ci_u32_e64 v32, s0, v52, v36, s0
	v_mov_b32_e32 v47, v39
	v_lshlrev_b64 v[35:36], 3, v[43:44]
	v_add_co_u32 v55, s0, v0, v40
	v_add_co_ci_u32_e64 v56, s0, v52, v41, s0
	v_lshlrev_b64 v[39:40], 3, v[46:47]
	v_add_co_u32 v41, s0, v0, v35
	v_add_co_ci_u32_e64 v42, s0, v52, v36, s0
	v_add_co_u32 v47, s0, v0, v39
	v_add_co_ci_u32_e64 v48, s0, v52, v40, s0
	s_clause 0x7
	global_load_dwordx2 v[43:44], v[25:26], off
	global_load_dwordx2 v[49:50], v[27:28], off
	global_load_dwordx2 v[45:46], v[53:54], off
	global_load_dwordx2 v[37:38], v[37:38], off
	global_load_dwordx2 v[39:40], v[31:32], off
	global_load_dwordx2 v[35:36], v[55:56], off
	global_load_dwordx2 v[41:42], v[41:42], off
	global_load_dwordx2 v[31:32], v[47:48], off
                                        ; implicit-def: $vgpr25
                                        ; implicit-def: $vgpr27
                                        ; implicit-def: $vgpr47
                                        ; implicit-def: $vgpr55
                                        ; implicit-def: $vgpr53
	v_cmpx_gt_u32_e32 45, v90
	s_cbranch_execz .LBB0_14
; %bb.13:
	v_add_nc_u32_e32 v51, 0xb4, v90
	v_add_nc_u32_e32 v57, 0x195, v90
	;; [unrolled: 1-line block ×5, first 2 shown]
	v_mad_u64_u32 v[25:26], null, s20, v51, 0
	v_mad_u64_u32 v[27:28], null, s20, v57, 0
	;; [unrolled: 1-line block ×4, first 2 shown]
	v_add_nc_u32_e32 v68, 0x6db, v90
	v_mad_u64_u32 v[62:63], null, s20, v67, 0
	v_mad_u64_u32 v[55:56], null, s21, v51, v[26:27]
	v_mov_b32_e32 v26, v48
	v_mov_b32_e32 v48, v54
	s_waitcnt vmcnt(10)
	v_mad_u64_u32 v[56:57], null, s21, v57, v[28:29]
	v_add_nc_u32_e32 v72, 0x89d, v90
	v_mad_u64_u32 v[57:58], null, s21, v58, v[26:27]
	v_mov_b32_e32 v26, v55
	s_waitcnt vmcnt(6)
	v_mad_u64_u32 v[54:55], null, s21, v59, v[48:49]
	v_add_nc_u32_e32 v55, 0x438, v90
	v_mov_b32_e32 v28, v56
	v_lshlrev_b64 v[25:26], 3, v[25:26]
	v_mov_b32_e32 v48, v57
	v_add_nc_u32_e32 v57, 0x519, v90
	v_mad_u64_u32 v[58:59], null, s20, v55, 0
	v_lshlrev_b64 v[27:28], 3, v[27:28]
	v_add_co_u32 v25, s0, v0, v25
	v_mad_u64_u32 v[60:61], null, s20, v57, 0
	v_lshlrev_b64 v[47:48], 3, v[47:48]
	v_mov_b32_e32 v51, v59
	v_add_co_ci_u32_e64 v26, s0, v52, v26, s0
	v_add_co_u32 v27, s0, v0, v27
	v_mad_u64_u32 v[55:56], null, s21, v55, v[51:52]
	v_mov_b32_e32 v51, v61
	v_lshlrev_b64 v[53:54], 3, v[53:54]
	v_add_co_ci_u32_e64 v28, s0, v52, v28, s0
	v_add_co_u32 v47, s0, v0, v47
	v_mad_u64_u32 v[64:65], null, s21, v57, v[51:52]
	v_mad_u64_u32 v[65:66], null, s20, v68, 0
	v_add_co_ci_u32_e64 v48, s0, v52, v48, s0
	v_mov_b32_e32 v59, v55
	v_mov_b32_e32 v51, v63
	v_add_co_u32 v53, s0, v0, v53
	v_mov_b32_e32 v61, v64
	v_add_nc_u32_e32 v64, 0x7bc, v90
	v_add_co_ci_u32_e64 v54, s0, v52, v54, s0
	s_clause 0x3
	global_load_dwordx2 v[25:26], v[25:26], off
	global_load_dwordx2 v[27:28], v[27:28], off
	;; [unrolled: 1-line block ×4, first 2 shown]
	v_lshlrev_b64 v[53:54], 3, v[58:59]
	v_mad_u64_u32 v[57:58], null, s21, v67, v[51:52]
	v_mov_b32_e32 v51, v66
	v_mad_u64_u32 v[58:59], null, s20, v64, 0
	v_add_co_u32 v53, s0, v0, v53
	v_mad_u64_u32 v[66:67], null, s21, v68, v[51:52]
	v_mad_u64_u32 v[67:68], null, s20, v72, 0
	v_mov_b32_e32 v51, v59
	v_lshlrev_b64 v[59:60], 3, v[60:61]
	v_mov_b32_e32 v63, v57
	v_add_co_ci_u32_e64 v54, s0, v52, v54, s0
	v_mad_u64_u32 v[69:70], null, s21, v64, v[51:52]
	v_mov_b32_e32 v51, v68
	v_add_co_u32 v70, s0, v0, v59
	v_add_co_ci_u32_e64 v71, s0, v52, v60, s0
	v_lshlrev_b64 v[60:61], 3, v[62:63]
	v_mad_u64_u32 v[62:63], null, s21, v72, v[51:52]
	v_mov_b32_e32 v59, v69
	v_lshlrev_b64 v[63:64], 3, v[65:66]
	v_add_co_u32 v60, s0, v0, v60
	v_lshlrev_b64 v[57:58], 3, v[58:59]
	v_mov_b32_e32 v68, v62
	v_add_co_ci_u32_e64 v61, s0, v52, v61, s0
	v_add_co_u32 v65, s0, v0, v63
	v_lshlrev_b64 v[62:63], 3, v[67:68]
	v_add_co_ci_u32_e64 v66, s0, v52, v64, s0
	v_add_co_u32 v57, s0, v0, v57
	v_add_co_ci_u32_e64 v58, s0, v52, v58, s0
	v_add_co_u32 v67, s0, v0, v62
	v_add_co_ci_u32_e64 v68, s0, v52, v63, s0
	s_clause 0x5
	global_load_dwordx2 v[51:52], v[53:54], off
	global_load_dwordx2 v[63:64], v[70:71], off
	;; [unrolled: 1-line block ×6, first 2 shown]
.LBB0_14:
	s_or_b32 exec_lo, exec_lo, s6
.LBB0_15:
	s_or_b32 exec_lo, exec_lo, s1
	v_add_f32_e32 v0, v21, v23
	v_add_f32_e32 v65, v33, v11
	;; [unrolled: 1-line block ×3, first 2 shown]
	v_sub_f32_e32 v67, v24, v22
	v_sub_f32_e32 v68, v23, v11
	v_fma_f32 v0, -0.5, v0, v5
	v_fmac_f32_e32 v5, -0.5, v65
	v_sub_f32_e32 v65, v12, v34
	v_sub_f32_e32 v69, v21, v33
	v_sub_f32_e32 v70, v11, v23
	v_sub_f32_e32 v72, v33, v21
	v_fmamk_f32 v71, v67, 0x3f737871, v5
	v_fmac_f32_e32 v5, 0xbf737871, v67
	v_add_f32_e32 v68, v69, v68
	v_add_f32_e32 v69, v17, v19
	s_waitcnt vmcnt(10)
	v_add_f32_e32 v74, v29, v15
	v_fmac_f32_e32 v71, 0xbf167918, v65
	v_fmac_f32_e32 v5, 0x3f167918, v65
	v_add_f32_e32 v73, v15, v9
	v_add_f32_e32 v70, v72, v70
	v_fma_f32 v92, -0.5, v69, v9
	v_fmac_f32_e32 v71, 0x3e9e377a, v68
	v_sub_f32_e32 v69, v20, v18
	v_fmac_f32_e32 v9, -0.5, v74
	v_fmac_f32_e32 v5, 0x3e9e377a, v68
	v_sub_f32_e32 v68, v19, v15
	v_sub_f32_e32 v72, v17, v29
	v_sub_f32_e32 v75, v15, v19
	v_sub_f32_e32 v76, v29, v17
	v_add_f32_e32 v77, v30, v16
	v_sub_f32_e32 v79, v15, v29
	v_add_f32_e32 v15, v18, v20
	v_sub_f32_e32 v74, v16, v30
	v_fmamk_f32 v93, v69, 0x3f737871, v9
	v_fmac_f32_e32 v9, 0xbf737871, v69
	v_add_f32_e32 v68, v72, v68
	v_add_f32_e32 v72, v76, v75
	v_fma_f32 v94, -0.5, v77, v10
	v_sub_f32_e32 v75, v19, v17
	v_fma_f32 v15, -0.5, v15, v10
	v_fmac_f32_e32 v93, 0xbf167918, v74
	v_fmac_f32_e32 v9, 0x3f167918, v74
	v_sub_f32_e32 v76, v16, v20
	v_sub_f32_e32 v77, v20, v16
	;; [unrolled: 1-line block ×3, first 2 shown]
	v_fmamk_f32 v95, v75, 0xbf737871, v94
	v_fmac_f32_e32 v94, 0x3f737871, v75
	v_sub_f32_e32 v80, v30, v18
	v_fmamk_f32 v96, v79, 0x3f737871, v15
	v_fmac_f32_e32 v15, 0xbf737871, v79
	v_fmac_f32_e32 v93, 0x3e9e377a, v68
	v_add_f32_e32 v77, v78, v77
	v_fmac_f32_e32 v95, 0x3f167918, v79
	v_fmac_f32_e32 v94, 0xbf167918, v79
	;; [unrolled: 1-line block ×3, first 2 shown]
	v_add_f32_e32 v68, v80, v76
	v_fmamk_f32 v97, v74, 0xbf737871, v92
	v_fmac_f32_e32 v96, 0x3f167918, v75
	v_fmac_f32_e32 v92, 0x3f737871, v74
	v_fmac_f32_e32 v15, 0xbf167918, v75
	v_fmac_f32_e32 v95, 0x3e9e377a, v77
	v_fmac_f32_e32 v94, 0x3e9e377a, v77
	v_add_f32_e32 v66, v23, v66
	v_fmamk_f32 v76, v65, 0xbf737871, v0
	v_add_f32_e32 v19, v19, v73
	v_fmac_f32_e32 v97, 0xbf167918, v69
	v_fmac_f32_e32 v96, 0x3e9e377a, v68
	;; [unrolled: 1-line block ×5, first 2 shown]
	v_add_f32_e32 v66, v21, v66
	v_fmac_f32_e32 v76, 0xbf167918, v67
	v_add_f32_e32 v17, v17, v19
	v_fmac_f32_e32 v97, 0x3e9e377a, v72
	v_mul_f32_e32 v73, 0xbf167918, v96
	v_mul_f32_e32 v77, 0xbf737871, v95
	;; [unrolled: 1-line block ×3, first 2 shown]
	v_fmac_f32_e32 v0, 0x3f167918, v67
	v_fmac_f32_e32 v92, 0x3e9e377a, v72
	v_mul_f32_e32 v74, 0xbf167918, v15
	v_add_f32_e32 v19, v33, v66
	v_fmac_f32_e32 v76, 0x3e9e377a, v70
	v_add_f32_e32 v29, v29, v17
	v_fmac_f32_e32 v73, 0x3f4f1bbd, v97
	v_fmac_f32_e32 v77, 0x3e9e377a, v93
	;; [unrolled: 1-line block ×3, first 2 shown]
	v_mul_u32_u24_e32 v17, 10, v90
	v_fmac_f32_e32 v0, 0x3e9e377a, v70
	v_fmac_f32_e32 v74, 0xbf4f1bbd, v92
	v_add_f32_e32 v65, v29, v19
	v_add_f32_e32 v66, v76, v73
	;; [unrolled: 1-line block ×4, first 2 shown]
	v_lshl_add_u32 v17, v17, 2, 0
	v_sub_f32_e32 v72, v19, v29
	s_waitcnt vmcnt(3)
	v_add_f32_e32 v19, v39, v45
	s_waitcnt vmcnt(1)
	v_add_f32_e32 v29, v41, v43
	v_sub_f32_e32 v69, v76, v73
	v_sub_f32_e32 v70, v71, v77
	v_add_f32_e32 v71, v0, v74
	ds_write2_b64 v17, v[65:66], v[67:68] offset1:1
	ds_write2_b64 v17, v[71:72], v[69:70] offset0:2 offset1:3
	v_add_f32_e32 v65, v43, v7
	v_fma_f32 v66, -0.5, v19, v7
	v_fmac_f32_e32 v7, -0.5, v29
	v_sub_f32_e32 v19, v46, v40
	v_sub_f32_e32 v70, v5, v78
	;; [unrolled: 1-line block ×5, first 2 shown]
	v_fmamk_f32 v68, v19, 0x3f737871, v7
	v_sub_f32_e32 v69, v44, v42
	v_sub_f32_e32 v72, v41, v39
	v_fmac_f32_e32 v7, 0xbf737871, v19
	v_sub_f32_e32 v71, v0, v74
	v_add_f32_e32 v0, v67, v29
	v_fmac_f32_e32 v68, 0xbf167918, v69
	v_add_f32_e32 v29, v35, v37
	v_add_f32_e32 v67, v72, v5
	s_waitcnt vmcnt(0)
	v_add_f32_e32 v72, v31, v49
	v_fmac_f32_e32 v7, 0x3f167918, v69
	v_fmac_f32_e32 v68, 0x3e9e377a, v0
	v_fma_f32 v5, -0.5, v29, v13
	v_add_f32_e32 v73, v49, v13
	v_fmac_f32_e32 v13, -0.5, v72
	v_fmac_f32_e32 v7, 0x3e9e377a, v0
	v_sub_f32_e32 v0, v49, v37
	v_sub_f32_e32 v72, v37, v49
	;; [unrolled: 1-line block ×3, first 2 shown]
	v_add_f32_e32 v78, v32, v50
	v_sub_f32_e32 v80, v49, v31
	v_add_f32_e32 v49, v36, v38
	v_sub_f32_e32 v77, v31, v35
	v_add_f32_e32 v72, v75, v72
	v_fma_f32 v99, -0.5, v78, v14
	v_sub_f32_e32 v75, v37, v35
	v_fma_f32 v49, -0.5, v49, v14
	v_sub_f32_e32 v74, v38, v36
	v_sub_f32_e32 v76, v50, v32
	v_add_f32_e32 v0, v77, v0
	v_sub_f32_e32 v77, v50, v38
	v_sub_f32_e32 v78, v38, v50
	;; [unrolled: 1-line block ×3, first 2 shown]
	v_fmamk_f32 v98, v75, 0xbf737871, v99
	v_fmac_f32_e32 v99, 0x3f737871, v75
	v_sub_f32_e32 v81, v32, v36
	v_fmamk_f32 v100, v80, 0x3f737871, v49
	v_fmac_f32_e32 v49, 0xbf737871, v80
	v_fmamk_f32 v29, v74, 0x3f737871, v13
	v_fmac_f32_e32 v13, 0xbf737871, v74
	v_add_f32_e32 v78, v79, v78
	v_fmac_f32_e32 v98, 0x3f167918, v80
	v_fmac_f32_e32 v99, 0xbf167918, v80
	v_add_f32_e32 v77, v81, v77
	v_add_f32_e32 v65, v45, v65
	v_fmamk_f32 v101, v76, 0xbf737871, v5
	v_fmac_f32_e32 v100, 0x3f167918, v75
	v_add_f32_e32 v37, v37, v73
	v_fmac_f32_e32 v5, 0x3f737871, v76
	v_fmac_f32_e32 v49, 0xbf167918, v75
	;; [unrolled: 1-line block ×6, first 2 shown]
	v_fmamk_f32 v78, v69, 0xbf737871, v66
	v_add_f32_e32 v65, v39, v65
	v_fmac_f32_e32 v101, 0xbf167918, v74
	v_fmac_f32_e32 v100, 0x3e9e377a, v77
	v_add_f32_e32 v35, v35, v37
	v_fmac_f32_e32 v66, 0x3f737871, v69
	v_fmac_f32_e32 v5, 0x3f167918, v74
	;; [unrolled: 1-line block ×6, first 2 shown]
	v_add_f32_e32 v37, v41, v65
	v_fmac_f32_e32 v101, 0x3e9e377a, v0
	v_mul_f32_e32 v65, 0xbf167918, v100
	v_mul_f32_e32 v79, 0xbf737871, v98
	v_add_f32_e32 v31, v31, v35
	v_mul_f32_e32 v80, 0xbf737871, v99
	v_mul_i32_i24_e32 v35, 10, v91
	v_fmac_f32_e32 v66, 0x3f167918, v19
	v_fmac_f32_e32 v5, 0x3e9e377a, v0
	v_mul_f32_e32 v0, 0xbf167918, v49
	v_fmac_f32_e32 v78, 0x3e9e377a, v67
	v_fmac_f32_e32 v65, 0x3f4f1bbd, v101
	;; [unrolled: 1-line block ×4, first 2 shown]
	v_lshl_add_u32 v19, v35, 2, 0
	v_fmac_f32_e32 v66, 0x3e9e377a, v67
	v_fmac_f32_e32 v0, 0xbf4f1bbd, v5
	v_add_f32_e32 v35, v53, v51
	v_add_f32_e32 v72, v31, v37
	;; [unrolled: 1-line block ×5, first 2 shown]
	v_sub_f32_e32 v76, v78, v65
	v_sub_f32_e32 v77, v68, v79
	v_sub_f32_e32 v79, v37, v31
	v_add_f32_e32 v78, v66, v0
	v_sub_f32_e32 v81, v66, v0
	v_fma_f32 v35, -0.5, v35, v25
	v_sub_f32_e32 v0, v48, v58
	v_sub_f32_e32 v37, v47, v51
	;; [unrolled: 1-line block ×4, first 2 shown]
	v_add_f32_e32 v7, v59, v63
	v_fmamk_f32 v31, v0, 0xbf737871, v35
	v_sub_f32_e32 v68, v52, v54
	v_add_f32_e32 v37, v65, v37
	v_fmac_f32_e32 v35, 0x3f737871, v0
	v_fma_f32 v102, -0.5, v7, v27
	v_sub_f32_e32 v65, v56, v62
	v_sub_f32_e32 v7, v55, v63
	;; [unrolled: 1-line block ×3, first 2 shown]
	v_fmac_f32_e32 v31, 0xbf167918, v68
	v_fmac_f32_e32 v35, 0x3f167918, v68
	v_fmamk_f32 v103, v65, 0xbf737871, v102
	v_sub_f32_e32 v67, v64, v60
	v_add_f32_e32 v7, v66, v7
	v_add_f32_e32 v66, v61, v55
	v_fmac_f32_e32 v102, 0x3f737871, v65
	v_fmac_f32_e32 v31, 0x3e9e377a, v37
	;; [unrolled: 1-line block ×4, first 2 shown]
	v_add_f32_e32 v69, v55, v27
	v_fmac_f32_e32 v27, -0.5, v66
	v_fmac_f32_e32 v102, 0x3f167918, v67
	v_sub_f32_e32 v37, v63, v55
	v_sub_f32_e32 v66, v59, v61
	v_add_f32_e32 v82, v60, v64
	v_fmac_f32_e32 v103, 0x3e9e377a, v7
	v_fmac_f32_e32 v102, 0x3e9e377a, v7
	v_fmamk_f32 v7, v67, 0x3f737871, v27
	v_fmac_f32_e32 v27, 0xbf737871, v67
	v_add_f32_e32 v66, v66, v37
	v_fma_f32 v104, -0.5, v82, v28
	v_sub_f32_e32 v67, v55, v61
	v_sub_f32_e32 v37, v56, v64
	;; [unrolled: 1-line block ×3, first 2 shown]
	v_add_f32_e32 v82, v62, v56
	v_fmac_f32_e32 v7, 0xbf167918, v65
	v_fmamk_f32 v105, v67, 0x3f737871, v104
	v_sub_f32_e32 v83, v63, v59
	v_fmac_f32_e32 v27, 0x3f167918, v65
	v_add_f32_e32 v65, v55, v37
	v_fma_f32 v55, -0.5, v82, v28
	v_fmac_f32_e32 v104, 0xbf737871, v67
	v_fmac_f32_e32 v105, 0x3f167918, v83
	v_add_f32_e32 v85, v47, v25
	v_add_f32_e32 v63, v63, v69
	v_fmamk_f32 v37, v83, 0xbf737871, v55
	v_fmac_f32_e32 v55, 0x3f737871, v83
	v_fmac_f32_e32 v104, 0xbf167918, v83
	;; [unrolled: 1-line block ×3, first 2 shown]
	v_sub_f32_e32 v82, v64, v56
	v_fmac_f32_e32 v37, 0x3f167918, v67
	v_fmac_f32_e32 v55, 0xbf167918, v67
	v_add_f32_e32 v67, v51, v85
	v_fmac_f32_e32 v104, 0x3e9e377a, v65
	v_sub_f32_e32 v84, v60, v62
	v_fmac_f32_e32 v7, 0x3e9e377a, v66
	v_fmac_f32_e32 v27, 0x3e9e377a, v66
	v_add_f32_e32 v65, v53, v67
	v_mul_f32_e32 v69, 0xbf167918, v104
	v_add_f32_e32 v67, v59, v63
	v_mul_f32_e32 v63, 0xbf167918, v105
	v_add_f32_e32 v82, v84, v82
	v_add_f32_e32 v59, v57, v65
	v_fmac_f32_e32 v69, 0xbf4f1bbd, v102
	v_add_f32_e32 v61, v61, v67
	v_fmac_f32_e32 v63, 0x3f4f1bbd, v103
	v_fmac_f32_e32 v37, 0x3e9e377a, v82
	;; [unrolled: 1-line block ×3, first 2 shown]
	v_add_f32_e32 v65, v35, v69
	v_sub_f32_e32 v66, v59, v61
	v_cmp_gt_u32_e64 s1, 45, v90
	v_sub_f32_e32 v67, v31, v63
	ds_write_b64 v17, v[70:71] offset:32
	ds_write2_b64 v19, v[72:73], v[74:75] offset1:1
	ds_write2_b64 v19, v[78:79], v[76:77] offset0:2 offset1:3
	ds_write_b64 v19, v[80:81] offset:32
	s_and_saveexec_b32 s0, s1
	s_cbranch_execz .LBB0_17
; %bb.16:
	v_add_f32_e32 v70, v57, v47
	v_mul_f32_e32 v76, 0xbf737871, v55
	v_add_f32_e32 v72, v31, v63
	v_add_f32_e32 v71, v61, v59
	v_add_nc_u32_e32 v31, 0x1c30, v17
	v_fmac_f32_e32 v25, -0.5, v70
	v_sub_f32_e32 v70, v35, v69
	v_sub_f32_e32 v35, v51, v47
	;; [unrolled: 1-line block ×3, first 2 shown]
	v_fmac_f32_e32 v76, 0xbe9e377a, v27
	v_fmamk_f32 v75, v68, 0xbf737871, v25
	v_fmac_f32_e32 v25, 0x3f737871, v68
	v_mul_f32_e32 v68, 0xbf737871, v37
	v_add_f32_e32 v35, v69, v35
	v_fmac_f32_e32 v75, 0x3f167918, v0
	v_fmac_f32_e32 v25, 0xbf167918, v0
	;; [unrolled: 1-line block ×3, first 2 shown]
	v_add_nc_u32_e32 v0, 0x1c20, v17
	v_fmac_f32_e32 v75, 0x3e9e377a, v35
	v_fmac_f32_e32 v25, 0x3e9e377a, v35
	v_add_f32_e32 v74, v75, v76
	v_add_f32_e32 v73, v25, v68
	v_sub_f32_e32 v68, v25, v68
	v_sub_f32_e32 v69, v75, v76
	ds_write2_b64 v0, v[71:72], v[73:74] offset1:1
	ds_write2_b64 v31, v[65:66], v[67:68] offset1:1
	ds_write_b64 v17, v[69:70] offset:7232
.LBB0_17:
	s_or_b32 exec_lo, exec_lo, s0
	v_mad_i32_i24 v0, 0xffffffdc, v90, v17
	s_waitcnt lgkmcnt(0)
	s_barrier
	buffer_gl0_inv
	v_cmp_gt_u32_e64 s0, 30, v90
	v_add_nc_u32_e32 v25, 0x800, v0
	v_add_nc_u32_e32 v31, 0x1400, v0
	;; [unrolled: 1-line block ×5, first 2 shown]
	ds_read2_b32 v[68:69], v0 offset1:180
	ds_read2_b32 v[70:71], v25 offset0:118 offset1:238
	ds_read2_b32 v[76:77], v31 offset0:100 offset1:220
	v_add_nc_u32_e32 v31, 0xe00, v0
	ds_read2_b32 v[84:85], v35 offset0:72 offset1:162
	ds_read2_b32 v[82:83], v59 offset0:54 offset1:144
	;; [unrolled: 1-line block ×3, first 2 shown]
	v_add_nc_u32_e32 v35, 0x1a00, v0
	v_add_nc_u32_e32 v59, 0x600, v0
	;; [unrolled: 1-line block ×4, first 2 shown]
	v_mad_i32_i24 v25, 0xffffffdc, v91, v19
	ds_read2_b32 v[88:89], v31 offset0:124 offset1:214
	ds_read2_b32 v[86:87], v35 offset0:106 offset1:196
	;; [unrolled: 1-line block ×5, first 2 shown]
	ds_read_b32 v31, v25
	ds_read_b32 v35, v0 offset:8520
	s_and_saveexec_b32 s6, s0
	s_cbranch_execz .LBB0_19
; %bb.18:
	ds_read_b32 v65, v0 offset:2880
	ds_read_b32 v66, v0 offset:5880
	;; [unrolled: 1-line block ×3, first 2 shown]
.LBB0_19:
	s_or_b32 exec_lo, exec_lo, s6
	v_add_f32_e32 v25, v12, v6
	v_add_f32_e32 v59, v22, v24
	;; [unrolled: 1-line block ×3, first 2 shown]
	v_sub_f32_e32 v33, v11, v33
	v_sub_f32_e32 v21, v23, v21
	v_add_f32_e32 v11, v24, v25
	v_fma_f32 v25, -0.5, v59, v6
	v_fmac_f32_e32 v6, -0.5, v61
	v_add_f32_e32 v10, v16, v10
	v_sub_f32_e32 v23, v12, v24
	v_sub_f32_e32 v59, v34, v22
	v_add_f32_e32 v63, v22, v11
	v_fmamk_f32 v16, v21, 0xbf737871, v6
	v_sub_f32_e32 v12, v24, v12
	v_sub_f32_e32 v22, v22, v34
	v_add_f32_e32 v10, v20, v10
	v_fmac_f32_e32 v6, 0x3f737871, v21
	v_fmamk_f32 v106, v33, 0x3f737871, v25
	v_fmac_f32_e32 v25, 0xbf737871, v33
	v_fmac_f32_e32 v16, 0x3f167918, v33
	v_add_f32_e32 v12, v22, v12
	v_add_f32_e32 v10, v18, v10
	v_fmac_f32_e32 v6, 0xbf167918, v33
	v_mul_f32_e32 v20, 0x3f737871, v93
	v_add_f32_e32 v23, v59, v23
	v_add_f32_e32 v59, v34, v63
	v_fmac_f32_e32 v106, 0x3f167918, v21
	v_fmac_f32_e32 v25, 0xbf167918, v21
	;; [unrolled: 1-line block ×3, first 2 shown]
	v_add_f32_e32 v10, v30, v10
	v_fmac_f32_e32 v6, 0x3e9e377a, v12
	v_mul_f32_e32 v12, 0x3e9e377a, v94
	v_fmac_f32_e32 v20, 0x3e9e377a, v95
	v_add_f32_e32 v30, v44, v8
	v_fmac_f32_e32 v106, 0x3e9e377a, v23
	v_fmac_f32_e32 v25, 0x3e9e377a, v23
	v_add_f32_e32 v21, v10, v59
	v_mul_f32_e32 v15, 0x3f4f1bbd, v15
	v_fma_f32 v9, 0x3f737871, v9, -v12
	v_add_f32_e32 v12, v40, v46
	v_add_f32_e32 v23, v16, v20
	v_sub_f32_e32 v34, v59, v10
	v_add_f32_e32 v10, v46, v30
	v_sub_f32_e32 v93, v16, v20
	v_add_f32_e32 v16, v42, v44
	v_fma_f32 v15, 0x3f167918, v92, -v15
	v_add_f32_e32 v24, v6, v9
	v_fma_f32 v61, -0.5, v12, v8
	v_sub_f32_e32 v30, v45, v39
	v_add_f32_e32 v10, v40, v10
	v_sub_f32_e32 v94, v6, v9
	v_fmac_f32_e32 v8, -0.5, v16
	v_add_f32_e32 v9, v50, v14
	v_mul_f32_e32 v18, 0x3f167918, v97
	v_sub_f32_e32 v12, v43, v41
	v_add_f32_e32 v33, v25, v15
	v_sub_f32_e32 v95, v25, v15
	v_add_f32_e32 v6, v42, v10
	v_fmamk_f32 v10, v30, 0xbf737871, v8
	v_sub_f32_e32 v14, v46, v44
	v_sub_f32_e32 v15, v40, v42
	v_fmac_f32_e32 v8, 0x3f737871, v30
	v_add_f32_e32 v9, v38, v9
	v_fmac_f32_e32 v18, 0x3f4f1bbd, v96
	v_fmac_f32_e32 v10, 0x3f167918, v12
	v_add_f32_e32 v14, v15, v14
	v_fmac_f32_e32 v8, 0xbf167918, v12
	v_add_f32_e32 v9, v36, v9
	v_add_f32_e32 v22, v106, v18
	v_sub_f32_e32 v92, v106, v18
	v_fmamk_f32 v18, v12, 0x3f737871, v61
	v_sub_f32_e32 v39, v44, v46
	v_sub_f32_e32 v41, v42, v40
	v_fmac_f32_e32 v61, 0xbf737871, v12
	v_fmac_f32_e32 v10, 0x3e9e377a, v14
	;; [unrolled: 1-line block ×3, first 2 shown]
	v_add_f32_e32 v14, v32, v9
	v_mul_f32_e32 v9, 0x3e9e377a, v99
	v_fmac_f32_e32 v18, 0x3f167918, v30
	v_add_f32_e32 v20, v41, v39
	v_fmac_f32_e32 v61, 0xbf167918, v30
	v_mul_f32_e32 v15, 0x3f167918, v101
	v_mul_f32_e32 v12, 0x3f4f1bbd, v49
	v_fma_f32 v13, 0x3f737871, v13, -v9
	v_add_f32_e32 v9, v48, v26
	v_fmac_f32_e32 v18, 0x3e9e377a, v20
	v_fmac_f32_e32 v61, 0x3e9e377a, v20
	;; [unrolled: 1-line block ×3, first 2 shown]
	v_mul_f32_e32 v16, 0x3f737871, v29
	v_fma_f32 v5, 0x3f167918, v5, -v12
	v_add_f32_e32 v12, v54, v52
	v_add_f32_e32 v20, v52, v9
	;; [unrolled: 1-line block ×4, first 2 shown]
	v_fmac_f32_e32 v16, 0x3e9e377a, v98
	v_fma_f32 v9, -0.5, v12, v26
	v_sub_f32_e32 v12, v47, v57
	v_sub_f32_e32 v41, v6, v14
	;; [unrolled: 1-line block ×3, first 2 shown]
	v_add_f32_e32 v6, v54, v20
	v_add_f32_e32 v15, v56, v28
	v_add_f32_e32 v38, v10, v16
	v_sub_f32_e32 v43, v10, v16
	v_fmamk_f32 v10, v12, 0x3f737871, v9
	v_sub_f32_e32 v14, v51, v53
	v_sub_f32_e32 v16, v48, v52
	;; [unrolled: 1-line block ×3, first 2 shown]
	v_fmac_f32_e32 v9, 0xbf737871, v12
	v_add_f32_e32 v18, v58, v6
	v_add_f32_e32 v6, v64, v15
	v_fmac_f32_e32 v10, 0x3f167918, v14
	v_add_f32_e32 v16, v20, v16
	v_fmac_f32_e32 v9, 0xbf167918, v14
	v_mul_f32_e32 v20, 0x3f4f1bbd, v104
	v_add_f32_e32 v6, v60, v6
	v_mul_f32_e32 v15, 0x3f167918, v103
	v_fmac_f32_e32 v10, 0x3e9e377a, v16
	v_fmac_f32_e32 v9, 0x3e9e377a, v16
	v_fma_f32 v16, 0x3f167918, v102, -v20
	v_add_f32_e32 v20, v62, v6
	v_fmac_f32_e32 v15, 0x3f4f1bbd, v105
	v_mul_i32_i24_e32 v11, 0xffffffdc, v91
	v_add_f32_e32 v39, v8, v13
	v_add_f32_e32 v40, v61, v5
	v_sub_f32_e32 v44, v8, v13
	v_sub_f32_e32 v45, v61, v5
	v_add_f32_e32 v5, v9, v16
	v_sub_f32_e32 v6, v18, v20
	v_sub_f32_e32 v13, v10, v15
	v_add_nc_u32_e32 v50, 0xb4, v90
	s_waitcnt lgkmcnt(0)
	s_barrier
	buffer_gl0_inv
	ds_write2_b64 v17, v[21:22], v[23:24] offset1:1
	ds_write2_b64 v17, v[33:34], v[92:93] offset0:2 offset1:3
	ds_write_b64 v17, v[94:95] offset:32
	ds_write2_b64 v19, v[29:30], v[38:39] offset1:1
	ds_write2_b64 v19, v[40:41], v[42:43] offset0:2 offset1:3
	ds_write_b64 v19, v[44:45] offset:32
	s_and_saveexec_b32 s6, s1
	s_cbranch_execz .LBB0_21
; %bb.20:
	v_add_f32_e32 v8, v58, v48
	v_sub_f32_e32 v21, v54, v58
	v_add_f32_e32 v17, v20, v18
	v_mul_f32_e32 v7, 0x3f737871, v7
	v_add_f32_e32 v18, v10, v15
	v_fmac_f32_e32 v26, -0.5, v8
	v_sub_f32_e32 v8, v52, v48
	v_fmac_f32_e32 v7, 0x3e9e377a, v37
	v_fmamk_f32 v20, v14, 0xbf737871, v26
	v_fmac_f32_e32 v26, 0x3f737871, v14
	v_mul_f32_e32 v14, 0x3e9e377a, v55
	v_add_f32_e32 v8, v21, v8
	v_fmac_f32_e32 v20, 0x3f167918, v12
	v_fmac_f32_e32 v26, 0xbf167918, v12
	v_mul_u32_u24_e32 v12, 10, v50
	v_fma_f32 v21, 0x3f737871, v27, -v14
	v_fmac_f32_e32 v20, 0x3e9e377a, v8
	v_fmac_f32_e32 v26, 0x3e9e377a, v8
	v_sub_f32_e32 v8, v9, v16
	v_lshl_add_u32 v12, v12, 2, 0
	v_add_f32_e32 v9, v20, v7
	v_add_f32_e32 v10, v26, v21
	v_sub_f32_e32 v14, v20, v7
	v_sub_f32_e32 v7, v26, v21
	ds_write2_b64 v12, v[17:18], v[9:10] offset1:1
	ds_write2_b64 v12, v[5:6], v[13:14] offset0:2 offset1:3
	ds_write_b64 v12, v[7:8] offset:32
.LBB0_21:
	s_or_b32 exec_lo, exec_lo, s6
	v_add_nc_u32_e32 v7, 0x800, v0
	v_add_nc_u32_e32 v12, 0x1400, v0
	;; [unrolled: 1-line block ×5, first 2 shown]
	s_waitcnt lgkmcnt(0)
	s_barrier
	buffer_gl0_inv
	ds_read2_b32 v[9:10], v0 offset1:180
	ds_read2_b32 v[7:8], v7 offset0:118 offset1:238
	ds_read2_b32 v[16:17], v12 offset0:100 offset1:220
	v_add_nc_u32_e32 v49, v19, v11
	ds_read2_b32 v[24:25], v14 offset0:72 offset1:162
	ds_read2_b32 v[22:23], v15 offset0:54 offset1:144
	;; [unrolled: 1-line block ×3, first 2 shown]
	v_add_nc_u32_e32 v14, 0xe00, v0
	v_add_nc_u32_e32 v15, 0x1a00, v0
	v_add_nc_u32_e32 v18, 0x600, v0
	v_add_nc_u32_e32 v19, 0x1200, v0
	v_add_nc_u32_e32 v30, 0x1c00, v0
	ds_read2_b32 v[28:29], v14 offset0:124 offset1:214
	ds_read2_b32 v[26:27], v15 offset0:106 offset1:196
	;; [unrolled: 1-line block ×5, first 2 shown]
	ds_read_b32 v39, v49
	ds_read_b32 v32, v0 offset:8520
	s_and_saveexec_b32 s1, s0
	s_cbranch_execz .LBB0_23
; %bb.22:
	ds_read_b32 v5, v0 offset:2880
	ds_read_b32 v6, v0 offset:5880
	;; [unrolled: 1-line block ×3, first 2 shown]
.LBB0_23:
	s_or_b32 exec_lo, exec_lo, s1
	v_and_b32_e32 v30, 0xff, v91
	v_and_b32_e32 v47, 0xff, v90
	v_mov_b32_e32 v33, 0xcccd
	v_add_nc_u32_e32 v51, 0x10e, v90
	v_mov_b32_e32 v34, 4
	v_mul_lo_u16 v36, 0xcd, v30
	v_mul_lo_u16 v37, 0xcd, v47
	v_add_nc_u32_e32 v52, 0x168, v90
	v_mul_u32_u24_sdwa v38, v50, v33 dst_sel:DWORD dst_unused:UNUSED_PAD src0_sel:WORD_0 src1_sel:DWORD
	v_mul_u32_u24_sdwa v43, v51, v33 dst_sel:DWORD dst_unused:UNUSED_PAD src0_sel:WORD_0 src1_sel:DWORD
	v_lshrrev_b16 v36, 11, v36
	v_lshrrev_b16 v37, 11, v37
	v_add_nc_u32_e32 v55, 0x1c2, v90
	v_add_nc_u32_e32 v56, 0x21c, v90
	v_lshrrev_b32_e32 v38, 19, v38
	v_mul_lo_u16 v40, v36, 10
	v_mul_lo_u16 v41, v37, 10
	v_mul_u32_u24_sdwa v44, v52, v33 dst_sel:DWORD dst_unused:UNUSED_PAD src0_sel:WORD_0 src1_sel:DWORD
	v_lshrrev_b32_e32 v43, 19, v43
	v_add_nc_u32_e32 v54, 0x276, v90
	v_sub_nc_u16 v40, v91, v40
	v_sub_nc_u16 v41, v90, v41
	v_mul_lo_u16 v42, v38, 10
	v_mul_u32_u24_sdwa v48, v55, v33 dst_sel:DWORD dst_unused:UNUSED_PAD src0_sel:WORD_0 src1_sel:DWORD
	v_lshrrev_b32_e32 v44, 19, v44
	v_lshlrev_b32_sdwa v45, v34, v40 dst_sel:DWORD dst_unused:UNUSED_PAD src0_sel:DWORD src1_sel:BYTE_0
	v_lshlrev_b32_sdwa v46, v34, v41 dst_sel:DWORD dst_unused:UNUSED_PAD src0_sel:DWORD src1_sel:BYTE_0
	v_mul_lo_u16 v58, v43, 10
	v_sub_nc_u16 v42, v50, v42
	v_lshrrev_b32_e32 v59, 19, v48
	s_clause 0x1
	global_load_dwordx4 v[101:104], v45, s[12:13]
	global_load_dwordx4 v[105:108], v46, s[12:13]
	v_mul_u32_u24_sdwa v45, v56, v33 dst_sel:DWORD dst_unused:UNUSED_PAD src0_sel:WORD_0 src1_sel:DWORD
	v_mul_u32_u24_sdwa v46, v54, v33 dst_sel:DWORD dst_unused:UNUSED_PAD src0_sel:WORD_0 src1_sel:DWORD
	v_mul_lo_u16 v48, v44, 10
	v_sub_nc_u16 v58, v51, v58
	v_add_nc_u32_e32 v53, 0x2d0, v90
	v_lshrrev_b32_e32 v45, 19, v45
	v_lshlrev_b32_sdwa v57, v34, v42 dst_sel:DWORD dst_unused:UNUSED_PAD src0_sel:DWORD src1_sel:WORD_0
	v_lshrrev_b32_e32 v46, 19, v46
	v_sub_nc_u16 v60, v52, v48
	v_lshlrev_b32_sdwa v48, v34, v58 dst_sel:DWORD dst_unused:UNUSED_PAD src0_sel:DWORD src1_sel:WORD_0
	v_mul_lo_u16 v61, v45, 10
	v_mul_u32_u24_sdwa v33, v53, v33 dst_sel:DWORD dst_unused:UNUSED_PAD src0_sel:WORD_0 src1_sel:DWORD
	global_load_dwordx4 v[109:112], v57, s[12:13]
	v_lshlrev_b32_sdwa v62, v34, v60 dst_sel:DWORD dst_unused:UNUSED_PAD src0_sel:DWORD src1_sel:WORD_0
	global_load_dwordx4 v[113:116], v48, s[12:13]
	v_mul_lo_u16 v48, v46, 10
	v_sub_nc_u16 v61, v56, v61
	v_mul_lo_u16 v57, v59, 10
	v_lshrrev_b32_e32 v33, 19, v33
	global_load_dwordx4 v[117:120], v62, s[12:13]
	v_sub_nc_u16 v64, v54, v48
	v_lshlrev_b32_sdwa v48, v34, v61 dst_sel:DWORD dst_unused:UNUSED_PAD src0_sel:DWORD src1_sel:WORD_0
	v_sub_nc_u16 v57, v55, v57
	v_mul_u32_u24_e32 v46, 0x78, v46
	v_mul_u32_u24_e32 v45, 0x78, v45
	global_load_dwordx4 v[125:128], v48, s[12:13]
	v_mul_lo_u16 v62, v33, 10
	v_lshlrev_b32_sdwa v63, v34, v57 dst_sel:DWORD dst_unused:UNUSED_PAD src0_sel:DWORD src1_sel:WORD_0
	v_mov_b32_e32 v48, 2
	v_sub_nc_u16 v62, v53, v62
	global_load_dwordx4 v[121:124], v63, s[12:13]
	v_lshlrev_b32_sdwa v63, v34, v64 dst_sel:DWORD dst_unused:UNUSED_PAD src0_sel:DWORD src1_sel:WORD_0
	v_lshlrev_b32_sdwa v57, v48, v57 dst_sel:DWORD dst_unused:UNUSED_PAD src0_sel:DWORD src1_sel:WORD_0
	v_lshlrev_b32_sdwa v40, v48, v40 dst_sel:DWORD dst_unused:UNUSED_PAD src0_sel:DWORD src1_sel:BYTE_0
	v_lshlrev_b32_sdwa v34, v34, v62 dst_sel:DWORD dst_unused:UNUSED_PAD src0_sel:DWORD src1_sel:WORD_0
	s_clause 0x1
	global_load_dwordx4 v[129:132], v63, s[12:13]
	global_load_dwordx4 v[133:136], v34, s[12:13]
	v_mov_b32_e32 v34, 0x78
	v_mul_lo_u16 v63, v33, 30
	v_lshlrev_b32_sdwa v33, v48, v41 dst_sel:DWORD dst_unused:UNUSED_PAD src0_sel:DWORD src1_sel:BYTE_0
	v_lshlrev_b32_sdwa v41, v48, v42 dst_sel:DWORD dst_unused:UNUSED_PAD src0_sel:DWORD src1_sel:WORD_0
	v_lshlrev_b32_sdwa v42, v48, v58 dst_sel:DWORD dst_unused:UNUSED_PAD src0_sel:DWORD src1_sel:WORD_0
	v_mul_u32_u24_sdwa v37, v37, v34 dst_sel:DWORD dst_unused:UNUSED_PAD src0_sel:WORD_0 src1_sel:DWORD
	v_mul_u32_u24_sdwa v34, v36, v34 dst_sel:DWORD dst_unused:UNUSED_PAD src0_sel:WORD_0 src1_sel:DWORD
	v_mul_u32_u24_e32 v36, 0x78, v38
	v_mul_u32_u24_e32 v38, 0x78, v43
	;; [unrolled: 1-line block ×3, first 2 shown]
	v_lshlrev_b32_sdwa v58, v48, v60 dst_sel:DWORD dst_unused:UNUSED_PAD src0_sel:DWORD src1_sel:WORD_0
	v_lshlrev_b32_sdwa v60, v48, v64 dst_sel:DWORD dst_unused:UNUSED_PAD src0_sel:DWORD src1_sel:WORD_0
	v_mul_u32_u24_e32 v44, 0x78, v59
	v_lshlrev_b32_sdwa v59, v48, v61 dst_sel:DWORD dst_unused:UNUSED_PAD src0_sel:DWORD src1_sel:WORD_0
	v_add3_u32 v96, 0, v36, v41
	v_add3_u32 v94, 0, v43, v58
	v_add3_u32 v93, 0, v46, v60
	v_add3_u32 v92, 0, v44, v57
	v_add3_u32 v64, 0, v45, v59
	v_add3_u32 v98, 0, v37, v33
	v_add3_u32 v97, 0, v34, v40
	v_add3_u32 v95, 0, v38, v42
	s_waitcnt vmcnt(0) lgkmcnt(0)
	s_barrier
	buffer_gl0_inv
	v_mul_f32_e32 v60, v24, v102
	v_mul_f32_e32 v58, v82, v104
	;; [unrolled: 1-line block ×6, first 2 shown]
	v_fmac_f32_e32 v60, v84, v101
	v_fma_f32 v84, v22, v103, -v58
	v_mul_f32_e32 v106, v71, v106
	v_mul_f32_e32 v108, v77, v108
	v_fma_f32 v101, v24, v101, -v57
	v_fmac_f32_e32 v61, v82, v103
	v_fmac_f32_e32 v99, v71, v105
	;; [unrolled: 1-line block ×3, first 2 shown]
	v_mul_f32_e32 v44, v25, v110
	v_mul_f32_e32 v45, v23, v112
	;; [unrolled: 1-line block ×12, first 2 shown]
	v_fmac_f32_e32 v44, v85, v109
	v_fmac_f32_e32 v45, v83, v111
	v_mul_f32_e32 v37, v21, v126
	v_mul_f32_e32 v38, v19, v128
	v_fma_f32 v85, v25, v109, -v102
	v_fma_f32 v82, v23, v111, -v104
	v_fmac_f32_e32 v46, v88, v113
	v_fmac_f32_e32 v59, v86, v115
	v_fmac_f32_e32 v40, v89, v117
	v_mul_f32_e32 v41, v20, v122
	v_mul_f32_e32 v43, v18, v124
	;; [unrolled: 1-line block ×6, first 2 shown]
	v_fma_f32 v25, v29, v117, -v114
	v_mul_f32_e32 v33, v16, v130
	v_mul_f32_e32 v36, v6, v134
	;; [unrolled: 1-line block ×6, first 2 shown]
	v_fmac_f32_e32 v36, v66, v133
	v_fmac_f32_e32 v22, v67, v135
	v_mul_f32_e32 v126, v76, v130
	v_mul_f32_e32 v128, v35, v132
	v_fmac_f32_e32 v42, v87, v119
	v_fma_f32 v23, v27, v119, -v116
	v_fma_f32 v71, v8, v105, -v106
	;; [unrolled: 1-line block ×3, first 2 shown]
	v_fmac_f32_e32 v41, v80, v121
	v_fmac_f32_e32 v43, v78, v123
	;; [unrolled: 1-line block ×4, first 2 shown]
	v_fma_f32 v17, v19, v127, -v124
	v_fmac_f32_e32 v33, v76, v129
	v_fmac_f32_e32 v34, v35, v131
	v_fma_f32 v29, v6, v133, -v57
	v_fma_f32 v6, v13, v135, -v58
	v_add_f32_e32 v19, v99, v100
	v_add_f32_e32 v35, v60, v61
	;; [unrolled: 1-line block ×5, first 2 shown]
	v_fma_f32 v28, v28, v113, -v110
	v_fma_f32 v26, v26, v115, -v112
	;; [unrolled: 1-line block ×7, first 2 shown]
	v_add_f32_e32 v13, v68, v99
	v_sub_f32_e32 v21, v71, v27
	v_add_f32_e32 v32, v31, v60
	v_sub_f32_e32 v58, v101, v84
	v_add_f32_e32 v77, v46, v59
	v_add_f32_e32 v80, v40, v42
	;; [unrolled: 1-line block ×5, first 2 shown]
	v_sub_f32_e32 v107, v29, v6
	v_fma_f32 v19, -0.5, v19, v68
	v_fmac_f32_e32 v31, -0.5, v35
	v_add_f32_e32 v35, v57, v45
	v_fma_f32 v57, -0.5, v106, v65
	v_sub_f32_e32 v67, v85, v82
	v_add_f32_e32 v76, v72, v46
	v_add_f32_e32 v83, v74, v41
	v_fmac_f32_e32 v69, -0.5, v66
	v_sub_f32_e32 v78, v28, v26
	v_add_f32_e32 v79, v73, v40
	v_sub_f32_e32 v81, v25, v23
	v_sub_f32_e32 v87, v24, v18
	v_add_f32_e32 v88, v75, v37
	v_sub_f32_e32 v102, v20, v17
	v_add_f32_e32 v103, v70, v33
	;; [unrolled: 2-line block ×3, first 2 shown]
	v_fma_f32 v68, -0.5, v77, v72
	v_fmac_f32_e32 v73, -0.5, v80
	v_fma_f32 v74, -0.5, v86, v74
	v_fmac_f32_e32 v75, -0.5, v89
	v_fmac_f32_e32 v70, -0.5, v104
	v_fmamk_f32 v80, v21, 0xbf5db3d7, v19
	v_fmac_f32_e32 v19, 0x3f5db3d7, v21
	v_fmamk_f32 v21, v58, 0xbf5db3d7, v31
	v_fmac_f32_e32 v31, 0x3f5db3d7, v58
	;; [unrolled: 2-line block ×3, first 2 shown]
	v_add_f32_e32 v32, v32, v61
	v_add_f32_e32 v66, v76, v59
	;; [unrolled: 1-line block ×3, first 2 shown]
	v_fmamk_f32 v83, v67, 0xbf5db3d7, v69
	v_add_f32_e32 v72, v79, v42
	v_add_f32_e32 v77, v88, v38
	;; [unrolled: 1-line block ×3, first 2 shown]
	v_fmac_f32_e32 v69, 0x3f5db3d7, v67
	v_fmamk_f32 v67, v78, 0xbf5db3d7, v68
	v_fmac_f32_e32 v68, 0x3f5db3d7, v78
	v_fmamk_f32 v78, v81, 0xbf5db3d7, v73
	;; [unrolled: 2-line block ×5, first 2 shown]
	v_fmac_f32_e32 v70, 0x3f5db3d7, v105
	ds_write2_b32 v98, v13, v80 offset1:10
	ds_write_b32 v98, v19 offset:80
	ds_write2_b32 v97, v32, v21 offset1:10
	ds_write_b32 v97, v31 offset:80
	;; [unrolled: 2-line block ×8, first 2 shown]
	s_and_saveexec_b32 s1, s0
	s_cbranch_execz .LBB0_25
; %bb.24:
	v_add_f32_e32 v13, v65, v36
	v_lshlrev_b32_sdwa v19, v48, v62 dst_sel:DWORD dst_unused:UNUSED_PAD src0_sel:DWORD src1_sel:WORD_0
	v_lshlrev_b32_sdwa v21, v48, v63 dst_sel:DWORD dst_unused:UNUSED_PAD src0_sel:DWORD src1_sel:WORD_0
	v_add_f32_e32 v13, v13, v22
	v_add3_u32 v19, 0, v19, v21
	ds_write2_b32 v19, v13, v58 offset1:10
	ds_write_b32 v19, v57 offset:80
.LBB0_25:
	s_or_b32 exec_lo, exec_lo, s1
	v_add_f32_e32 v13, v71, v27
	v_add_f32_e32 v31, v101, v84
	v_add_f32_e32 v19, v9, v71
	v_sub_f32_e32 v21, v99, v100
	v_add_nc_u32_e32 v65, 0x1600, v0
	v_fma_f32 v66, -0.5, v13, v9
	v_add_f32_e32 v9, v39, v101
	v_sub_f32_e32 v13, v60, v61
	v_fmac_f32_e32 v39, -0.5, v31
	v_add_f32_e32 v67, v19, v27
	v_add_f32_e32 v19, v10, v85
	;; [unrolled: 1-line block ×4, first 2 shown]
	v_fmamk_f32 v70, v13, 0x3f5db3d7, v39
	v_fmac_f32_e32 v39, 0xbf5db3d7, v13
	v_add_f32_e32 v13, v28, v26
	v_add_f32_e32 v71, v19, v82
	v_fmac_f32_e32 v10, -0.5, v9
	v_sub_f32_e32 v9, v44, v45
	v_add_f32_e32 v19, v11, v28
	v_fma_f32 v72, -0.5, v13, v11
	v_sub_f32_e32 v11, v46, v59
	v_add_f32_e32 v13, v12, v25
	v_fmamk_f32 v73, v9, 0x3f5db3d7, v10
	v_fmac_f32_e32 v10, 0xbf5db3d7, v9
	v_add_f32_e32 v9, v25, v23
	v_fmamk_f32 v75, v11, 0x3f5db3d7, v72
	v_fmac_f32_e32 v72, 0xbf5db3d7, v11
	v_add_f32_e32 v11, v24, v18
	v_add_f32_e32 v76, v13, v23
	v_fmac_f32_e32 v12, -0.5, v9
	v_sub_f32_e32 v9, v40, v42
	v_add_f32_e32 v13, v14, v24
	v_fma_f32 v77, -0.5, v11, v14
	v_sub_f32_e32 v11, v41, v43
	v_add_f32_e32 v14, v20, v17
	v_fmamk_f32 v78, v9, 0x3f5db3d7, v12
	v_fmac_f32_e32 v12, 0xbf5db3d7, v9
	v_add_f32_e32 v9, v15, v20
	v_fmamk_f32 v80, v11, 0x3f5db3d7, v77
	v_fmac_f32_e32 v77, 0xbf5db3d7, v11
	v_add_f32_e32 v11, v16, v8
	v_fmac_f32_e32 v15, -0.5, v14
	v_add_f32_e32 v81, v9, v17
	v_add_f32_e32 v9, v29, v6
	;; [unrolled: 1-line block ×3, first 2 shown]
	v_fmac_f32_e32 v7, -0.5, v11
	v_sub_f32_e32 v11, v33, v34
	v_add_f32_e32 v79, v13, v18
	v_sub_f32_e32 v13, v37, v38
	v_fma_f32 v59, -0.5, v9, v5
	v_sub_f32_e32 v9, v36, v22
	v_fmamk_f32 v84, v11, 0x3f5db3d7, v7
	v_fmac_f32_e32 v7, 0xbf5db3d7, v11
	v_add_nc_u32_e32 v11, 0xc00, v0
	v_add_nc_u32_e32 v28, 0x1400, v0
	;; [unrolled: 1-line block ×10, first 2 shown]
	v_fmamk_f32 v68, v21, 0x3f5db3d7, v66
	v_fmac_f32_e32 v66, 0xbf5db3d7, v21
	v_add_f32_e32 v74, v19, v26
	v_fmamk_f32 v82, v13, 0x3f5db3d7, v15
	v_fmac_f32_e32 v15, 0xbf5db3d7, v13
	v_add_f32_e32 v83, v14, v8
	v_fmamk_f32 v60, v9, 0x3f5db3d7, v59
	v_fmac_f32_e32 v59, 0xbf5db3d7, v9
	s_waitcnt lgkmcnt(0)
	s_barrier
	buffer_gl0_inv
	ds_read2_b32 v[8:9], v0 offset1:180
	ds_read2_b32 v[35:36], v40 offset0:66 offset1:156
	ds_read2_b32 v[16:17], v11 offset0:42 offset1:132
	ds_read2_b32 v[37:38], v28 offset0:70 offset1:160
	ds_read2_b32 v[18:19], v41 offset0:46 offset1:136
	ds_read_b32 v46, v49
	ds_read2_b32 v[26:27], v43 offset0:94 offset1:184
	ds_read2_b32 v[24:25], v42 offset0:98 offset1:188
	;; [unrolled: 1-line block ×7, first 2 shown]
	s_waitcnt lgkmcnt(0)
	s_barrier
	buffer_gl0_inv
	ds_write2_b32 v98, v67, v68 offset1:10
	ds_write_b32 v98, v66 offset:80
	ds_write2_b32 v97, v69, v70 offset1:10
	ds_write_b32 v97, v39 offset:80
	;; [unrolled: 2-line block ×8, first 2 shown]
	s_and_saveexec_b32 s1, s0
	s_cbranch_execz .LBB0_27
; %bb.26:
	v_mov_b32_e32 v7, 2
	v_add_f32_e32 v5, v5, v29
	v_lshlrev_b32_sdwa v10, v7, v62 dst_sel:DWORD dst_unused:UNUSED_PAD src0_sel:DWORD src1_sel:WORD_0
	v_lshlrev_b32_sdwa v7, v7, v63 dst_sel:DWORD dst_unused:UNUSED_PAD src0_sel:DWORD src1_sel:WORD_0
	v_add_f32_e32 v5, v5, v6
	v_add3_u32 v6, 0, v10, v7
	ds_write2_b32 v6, v5, v60 offset1:10
	ds_write_b32 v6, v59 offset:80
.LBB0_27:
	s_or_b32 exec_lo, exec_lo, s1
	v_mul_lo_u16 v5, 0x89, v47
	s_waitcnt lgkmcnt(0)
	s_barrier
	buffer_gl0_inv
	v_mov_b32_e32 v93, 0x258
	v_lshrrev_b16 v7, 12, v5
	v_mul_lo_u16 v5, 0x89, v30
	v_add_nc_u32_e32 v47, 0x1800, v0
	v_add_nc_u32_e32 v66, 0x1200, v0
	v_mul_lo_u16 v6, v7, 30
	v_lshrrev_b16 v10, 12, v5
	v_mov_b32_e32 v5, 5
	v_mul_u32_u24_sdwa v7, v7, v93 dst_sel:DWORD dst_unused:UNUSED_PAD src0_sel:WORD_0 src1_sel:DWORD
	v_sub_nc_u16 v12, v90, v6
	v_mul_lo_u16 v6, v10, 30
	v_mul_u32_u24_sdwa v10, v10, v93 dst_sel:DWORD dst_unused:UNUSED_PAD src0_sel:WORD_0 src1_sel:DWORD
	v_lshlrev_b32_sdwa v15, v5, v12 dst_sel:DWORD dst_unused:UNUSED_PAD src0_sel:DWORD src1_sel:BYTE_0
	v_sub_nc_u16 v67, v91, v6
	v_mov_b32_e32 v6, 0x8889
	s_clause 0x1
	global_load_dwordx4 v[71:74], v15, s[12:13] offset:160
	global_load_dwordx4 v[75:78], v15, s[12:13] offset:176
	v_lshlrev_b32_sdwa v29, v5, v67 dst_sel:DWORD dst_unused:UNUSED_PAD src0_sel:DWORD src1_sel:BYTE_0
	v_mul_u32_u24_sdwa v15, v50, v6 dst_sel:DWORD dst_unused:UNUSED_PAD src0_sel:WORD_0 src1_sel:DWORD
	s_clause 0x1
	global_load_dwordx4 v[79:82], v29, s[12:13] offset:160
	global_load_dwordx4 v[84:87], v29, s[12:13] offset:176
	v_mul_u32_u24_sdwa v29, v51, v6 dst_sel:DWORD dst_unused:UNUSED_PAD src0_sel:WORD_0 src1_sel:DWORD
	v_mul_u32_u24_sdwa v6, v52, v6 dst_sel:DWORD dst_unused:UNUSED_PAD src0_sel:WORD_0 src1_sel:DWORD
	v_lshrrev_b32_e32 v15, 20, v15
	v_lshrrev_b32_e32 v68, 20, v29
	;; [unrolled: 1-line block ×3, first 2 shown]
	v_mul_lo_u16 v30, v15, 30
	v_mul_u32_u24_e32 v15, 0x258, v15
	v_mul_lo_u16 v29, v68, 30
	v_mul_lo_u16 v6, v70, 30
	v_sub_nc_u16 v69, v50, v30
	v_mul_u32_u24_e32 v93, 0x258, v70
	v_sub_nc_u16 v83, v51, v29
	v_sub_nc_u16 v92, v52, v6
	v_lshlrev_b32_sdwa v30, v5, v69 dst_sel:DWORD dst_unused:UNUSED_PAD src0_sel:DWORD src1_sel:WORD_0
	v_lshlrev_b32_sdwa v29, v5, v83 dst_sel:DWORD dst_unused:UNUSED_PAD src0_sel:DWORD src1_sel:WORD_0
	v_lshlrev_b32_sdwa v5, v5, v92 dst_sel:DWORD dst_unused:UNUSED_PAD src0_sel:DWORD src1_sel:WORD_0
	s_clause 0x5
	global_load_dwordx4 v[104:107], v30, s[12:13] offset:160
	global_load_dwordx4 v[108:111], v30, s[12:13] offset:176
	;; [unrolled: 1-line block ×6, first 2 shown]
	ds_read2_b32 v[5:6], v0 offset1:180
	ds_read2_b32 v[62:63], v40 offset0:66 offset1:156
	ds_read2_b32 v[128:129], v11 offset0:42 offset1:132
	;; [unrolled: 1-line block ×4, first 2 shown]
	ds_read_b32 v39, v49
	ds_read2_b32 v[132:133], v43 offset0:94 offset1:184
	ds_read2_b32 v[134:135], v42 offset0:98 offset1:188
	;; [unrolled: 1-line block ×7, first 2 shown]
	v_mov_b32_e32 v61, 2
	v_mul_u32_u24_e32 v48, 0x258, v68
	s_waitcnt vmcnt(0) lgkmcnt(0)
	s_barrier
	buffer_gl0_inv
	v_lshlrev_b32_sdwa v12, v61, v12 dst_sel:DWORD dst_unused:UNUSED_PAD src0_sel:DWORD src1_sel:BYTE_0
	v_lshlrev_b32_sdwa v67, v61, v67 dst_sel:DWORD dst_unused:UNUSED_PAD src0_sel:DWORD src1_sel:BYTE_0
	v_lshlrev_b32_sdwa v69, v61, v69 dst_sel:DWORD dst_unused:UNUSED_PAD src0_sel:DWORD src1_sel:WORD_0
	v_lshlrev_b32_sdwa v83, v61, v83 dst_sel:DWORD dst_unused:UNUSED_PAD src0_sel:DWORD src1_sel:WORD_0
	v_lshlrev_b32_sdwa v61, v61, v92 dst_sel:DWORD dst_unused:UNUSED_PAD src0_sel:DWORD src1_sel:WORD_0
	v_add3_u32 v70, 0, v7, v12
	v_add3_u32 v68, 0, v10, v67
	;; [unrolled: 1-line block ×5, first 2 shown]
	v_mul_f32_e32 v97, v62, v72
	v_mul_f32_e32 v7, v35, v72
	v_mul_f32_e32 v98, v129, v74
	v_mul_f32_e32 v10, v17, v74
	v_mul_f32_e32 v99, v88, v76
	v_mul_f32_e32 v12, v37, v76
	v_mul_f32_e32 v103, v131, v78
	v_mul_f32_e32 v15, v19, v78
	v_mul_f32_e32 v92, v63, v80
	v_mul_f32_e32 v61, v36, v80
	v_mul_f32_e32 v93, v132, v82
	v_mul_f32_e32 v72, v26, v82
	v_mul_f32_e32 v94, v89, v85
	v_mul_f32_e32 v95, v134, v87
	v_mul_f32_e32 v74, v38, v85
	v_mul_f32_e32 v76, v24, v87
	v_fmac_f32_e32 v97, v35, v71
	v_fma_f32 v101, v62, v71, -v7
	v_fmac_f32_e32 v98, v17, v73
	v_fma_f32 v102, v129, v73, -v10
	;; [unrolled: 2-line block ×6, first 2 shown]
	v_fmac_f32_e32 v94, v38, v84
	v_fmac_f32_e32 v95, v24, v86
	v_fma_f32 v88, v89, v84, -v74
	v_mul_f32_e32 v80, v136, v105
	v_mul_f32_e32 v78, v133, v107
	;; [unrolled: 1-line block ×19, first 2 shown]
	v_fma_f32 v89, v134, v86, -v76
	v_mul_f32_e32 v7, v33, v105
	v_mul_f32_e32 v15, v25, v111
	;; [unrolled: 1-line block ×5, first 2 shown]
	v_fmac_f32_e32 v78, v27, v106
	v_fma_f32 v82, v133, v106, -v10
	v_fmac_f32_e32 v80, v33, v104
	v_fmac_f32_e32 v81, v25, v110
	;; [unrolled: 1-line block ×3, first 2 shown]
	v_fma_f32 v86, v64, v108, -v12
	v_fmac_f32_e32 v75, v34, v112
	v_fma_f32 v64, v137, v112, -v17
	v_fmac_f32_e32 v71, v22, v114
	;; [unrolled: 2-line block ×3, first 2 shown]
	v_fmac_f32_e32 v77, v20, v118
	v_fma_f32 v76, v140, v118, -v26
	v_fmac_f32_e32 v37, v16, v120
	v_fma_f32 v32, v128, v120, -v61
	;; [unrolled: 2-line block ×3, first 2 shown]
	v_fmac_f32_e32 v36, v18, v124
	v_fmac_f32_e32 v38, v21, v126
	v_add_f32_e32 v10, v98, v99
	v_sub_f32_e32 v16, v97, v98
	v_sub_f32_e32 v17, v103, v99
	v_add_f32_e32 v18, v97, v103
	v_sub_f32_e32 v19, v98, v97
	v_sub_f32_e32 v20, v99, v103
	v_add_f32_e32 v21, v46, v92
	v_add_f32_e32 v22, v93, v94
	v_sub_f32_e32 v25, v92, v93
	v_sub_f32_e32 v26, v95, v94
	v_add_f32_e32 v27, v92, v95
	v_sub_f32_e32 v61, v93, v92
	v_sub_f32_e32 v62, v94, v95
	v_fma_f32 v83, v136, v104, -v7
	v_fma_f32 v84, v135, v110, -v15
	;; [unrolled: 1-line block ×5, first 2 shown]
	v_add_f32_e32 v7, v8, v97
	v_sub_f32_e32 v12, v101, v96
	v_sub_f32_e32 v15, v102, v100
	;; [unrolled: 1-line block ×4, first 2 shown]
	v_fma_f32 v10, -0.5, v10, v8
	v_add_f32_e32 v16, v16, v17
	v_fma_f32 v8, -0.5, v18, v8
	v_add_f32_e32 v17, v19, v20
	v_add_f32_e32 v18, v21, v93
	v_fma_f32 v19, -0.5, v22, v46
	v_add_f32_e32 v20, v25, v26
	v_fmac_f32_e32 v46, -0.5, v27
	v_add_f32_e32 v21, v61, v62
	v_add_f32_e32 v22, v9, v80
	;; [unrolled: 1-line block ×3, first 2 shown]
	v_sub_f32_e32 v61, v80, v78
	v_sub_f32_e32 v62, v81, v79
	v_add_f32_e32 v63, v80, v81
	v_sub_f32_e32 v65, v78, v80
	v_sub_f32_e32 v104, v79, v81
	v_add_f32_e32 v105, v13, v75
	v_add_f32_e32 v106, v71, v73
	;; [unrolled: 1-line block ×5, first 2 shown]
	v_sub_f32_e32 v26, v83, v84
	v_sub_f32_e32 v27, v82, v86
	;; [unrolled: 1-line block ×8, first 2 shown]
	v_add_f32_e32 v114, v14, v37
	v_sub_f32_e32 v117, v33, v34
	v_fmamk_f32 v123, v12, 0xbf737871, v10
	v_fmac_f32_e32 v10, 0x3f737871, v12
	v_fmamk_f32 v124, v15, 0x3f737871, v8
	v_fmac_f32_e32 v8, 0xbf737871, v15
	v_add_f32_e32 v18, v18, v94
	v_fmamk_f32 v125, v23, 0xbf737871, v19
	v_fmac_f32_e32 v19, 0x3f737871, v23
	v_fmamk_f32 v126, v24, 0x3f737871, v46
	v_fmac_f32_e32 v46, 0xbf737871, v24
	v_add_f32_e32 v22, v22, v78
	v_fma_f32 v25, -0.5, v25, v9
	v_add_f32_e32 v61, v61, v62
	v_fmac_f32_e32 v9, -0.5, v63
	v_add_f32_e32 v63, v65, v104
	v_add_f32_e32 v65, v105, v71
	v_fma_f32 v104, -0.5, v106, v13
	v_fma_f32 v13, -0.5, v111, v13
	;; [unrolled: 1-line block ×3, first 2 shown]
	v_fmac_f32_e32 v14, -0.5, v120
	v_add_f32_e32 v7, v7, v98
	v_sub_f32_e32 v116, v32, v31
	v_sub_f32_e32 v121, v35, v37
	;; [unrolled: 1-line block ×3, first 2 shown]
	v_add_f32_e32 v105, v109, v110
	v_add_f32_e32 v106, v112, v113
	;; [unrolled: 1-line block ×3, first 2 shown]
	v_fmac_f32_e32 v123, 0xbf167918, v15
	v_fmac_f32_e32 v10, 0x3f167918, v15
	;; [unrolled: 1-line block ×4, first 2 shown]
	v_add_f32_e32 v12, v18, v95
	v_fmac_f32_e32 v125, 0xbf167918, v24
	v_fmac_f32_e32 v19, 0x3f167918, v24
	;; [unrolled: 1-line block ×4, first 2 shown]
	v_add_f32_e32 v15, v22, v79
	v_fmamk_f32 v18, v26, 0xbf737871, v25
	v_fmac_f32_e32 v25, 0x3f737871, v26
	v_fmamk_f32 v22, v27, 0x3f737871, v9
	v_fmac_f32_e32 v9, 0xbf737871, v27
	v_add_f32_e32 v23, v65, v73
	v_fmamk_f32 v24, v107, 0xbf737871, v104
	v_fmamk_f32 v65, v108, 0x3f737871, v13
	v_fmac_f32_e32 v13, 0xbf737871, v108
	v_fmamk_f32 v113, v117, 0x3f737871, v14
	v_fmac_f32_e32 v14, 0xbf737871, v117
	v_sub_f32_e32 v118, v37, v35
	v_sub_f32_e32 v119, v38, v36
	v_add_f32_e32 v7, v7, v99
	v_fmac_f32_e32 v104, 0x3f737871, v107
	v_fmamk_f32 v112, v116, 0xbf737871, v62
	v_fmac_f32_e32 v62, 0x3f737871, v116
	v_add_f32_e32 v111, v121, v122
	v_add_f32_e32 v109, v109, v36
	v_fmac_f32_e32 v18, 0xbf167918, v27
	v_fmac_f32_e32 v25, 0x3f167918, v27
	v_fmac_f32_e32 v22, 0xbf167918, v26
	v_fmac_f32_e32 v9, 0x3f167918, v26
	v_fmac_f32_e32 v24, 0xbf167918, v108
	v_fmac_f32_e32 v65, 0xbf167918, v107
	v_fmac_f32_e32 v13, 0x3f167918, v107
	v_fmac_f32_e32 v14, 0x3f167918, v116
	v_add_f32_e32 v110, v118, v119
	v_add_f32_e32 v7, v7, v103
	v_fmac_f32_e32 v123, 0x3e9e377a, v16
	v_fmac_f32_e32 v104, 0x3f167918, v108
	;; [unrolled: 1-line block ×12, first 2 shown]
	v_add_f32_e32 v15, v15, v81
	v_add_f32_e32 v16, v23, v77
	;; [unrolled: 1-line block ×3, first 2 shown]
	v_fmac_f32_e32 v18, 0x3e9e377a, v61
	v_fmac_f32_e32 v25, 0x3e9e377a, v61
	;; [unrolled: 1-line block ×12, first 2 shown]
	ds_write2_b32 v70, v7, v123 offset1:30
	ds_write2_b32 v70, v124, v8 offset0:60 offset1:90
	ds_write_b32 v70, v10 offset:480
	ds_write2_b32 v68, v12, v125 offset1:30
	ds_write2_b32 v68, v126, v46 offset0:60 offset1:90
	ds_write_b32 v68, v19 offset:480
	;; [unrolled: 3-line block ×5, first 2 shown]
	s_waitcnt lgkmcnt(0)
	s_barrier
	buffer_gl0_inv
	ds_read2_b32 v[13:14], v0 offset1:180
	ds_read2_b32 v[7:8], v45 offset0:118 offset1:238
	ds_read2_b32 v[15:16], v28 offset0:100 offset1:220
	;; [unrolled: 1-line block ×10, first 2 shown]
	ds_read_b32 v63, v49
	ds_read_b32 v65, v0 offset:8520
	v_lshl_add_u32 v61, v90, 2, 0
	s_and_saveexec_b32 s1, s0
	s_cbranch_execz .LBB0_29
; %bb.28:
	ds_read_b32 v58, v0 offset:5880
	ds_read_b32 v62, v61 offset:2880
	;; [unrolled: 1-line block ×3, first 2 shown]
.LBB0_29:
	s_or_b32 exec_lo, exec_lo, s1
	v_add_f32_e32 v41, v5, v101
	v_add_f32_e32 v40, v102, v100
	v_sub_f32_e32 v42, v97, v103
	v_sub_f32_e32 v43, v98, v99
	v_add_f32_e32 v46, v101, v96
	v_add_f32_e32 v41, v41, v102
	v_fma_f32 v40, -0.5, v40, v5
	v_sub_f32_e32 v97, v102, v101
	v_sub_f32_e32 v99, v100, v96
	;; [unrolled: 1-line block ×3, first 2 shown]
	v_add_f32_e32 v41, v41, v100
	v_sub_f32_e32 v45, v96, v100
	v_fmamk_f32 v98, v42, 0x3f737871, v40
	v_fma_f32 v5, -0.5, v46, v5
	v_fmac_f32_e32 v40, 0xbf737871, v42
	v_add_f32_e32 v46, v87, v88
	v_add_f32_e32 v41, v41, v96
	;; [unrolled: 1-line block ×5, first 2 shown]
	v_fmac_f32_e32 v98, 0x3f167918, v43
	v_fmamk_f32 v45, v43, 0xbf737871, v5
	v_fmac_f32_e32 v40, 0xbf167918, v43
	v_fma_f32 v46, -0.5, v46, v39
	v_sub_f32_e32 v92, v92, v95
	v_fmac_f32_e32 v5, 0x3f737871, v43
	v_add_f32_e32 v43, v97, v87
	v_fmac_f32_e32 v98, 0x3e9e377a, v44
	v_fmac_f32_e32 v45, 0x3f167918, v42
	v_fmac_f32_e32 v40, 0x3e9e377a, v44
	v_fmamk_f32 v44, v92, 0x3f737871, v46
	v_sub_f32_e32 v93, v93, v94
	v_sub_f32_e32 v94, v85, v87
	;; [unrolled: 1-line block ×3, first 2 shown]
	v_add_f32_e32 v97, v85, v89
	v_fmac_f32_e32 v5, 0xbf167918, v42
	v_add_f32_e32 v42, v43, v88
	v_fmac_f32_e32 v46, 0xbf737871, v92
	v_sub_f32_e32 v85, v87, v85
	v_sub_f32_e32 v87, v88, v89
	v_add_f32_e32 v88, v6, v83
	v_fmac_f32_e32 v44, 0x3f167918, v93
	v_add_f32_e32 v43, v94, v95
	v_fmac_f32_e32 v39, -0.5, v97
	v_add_f32_e32 v42, v42, v89
	v_fmac_f32_e32 v46, 0xbf167918, v93
	v_add_f32_e32 v89, v82, v86
	v_add_f32_e32 v85, v85, v87
	;; [unrolled: 1-line block ×3, first 2 shown]
	v_fmac_f32_e32 v44, 0x3e9e377a, v43
	v_fmamk_f32 v94, v93, 0xbf737871, v39
	v_fmac_f32_e32 v39, 0x3f737871, v93
	v_fma_f32 v88, -0.5, v89, v6
	v_sub_f32_e32 v80, v80, v81
	v_fmac_f32_e32 v46, 0x3e9e377a, v43
	v_add_f32_e32 v43, v87, v86
	v_add_f32_e32 v87, v83, v84
	v_fmac_f32_e32 v94, 0x3f167918, v92
	v_fmac_f32_e32 v39, 0xbf167918, v92
	v_fmamk_f32 v81, v80, 0x3f737871, v88
	v_sub_f32_e32 v78, v78, v79
	v_sub_f32_e32 v79, v83, v82
	;; [unrolled: 1-line block ×3, first 2 shown]
	v_fmac_f32_e32 v6, -0.5, v87
	v_add_f32_e32 v43, v43, v84
	v_fmac_f32_e32 v88, 0xbf737871, v80
	v_sub_f32_e32 v82, v82, v83
	v_sub_f32_e32 v83, v86, v84
	v_add_f32_e32 v84, v72, v74
	v_fmac_f32_e32 v94, 0x3e9e377a, v85
	v_fmac_f32_e32 v39, 0x3e9e377a, v85
	;; [unrolled: 1-line block ×3, first 2 shown]
	v_add_f32_e32 v79, v79, v89
	v_fmamk_f32 v85, v78, 0xbf737871, v6
	v_fmac_f32_e32 v88, 0xbf167918, v78
	v_add_f32_e32 v82, v82, v83
	v_fmac_f32_e32 v6, 0x3f737871, v78
	v_add_f32_e32 v78, v29, v64
	v_fma_f32 v83, -0.5, v84, v29
	v_sub_f32_e32 v75, v75, v77
	v_fmac_f32_e32 v81, 0x3e9e377a, v79
	v_fmac_f32_e32 v85, 0x3f167918, v80
	;; [unrolled: 1-line block ×4, first 2 shown]
	v_add_f32_e32 v77, v78, v72
	v_fmamk_f32 v78, v75, 0x3f737871, v83
	v_sub_f32_e32 v71, v71, v73
	v_sub_f32_e32 v73, v64, v72
	;; [unrolled: 1-line block ×3, first 2 shown]
	v_fmac_f32_e32 v83, 0xbf737871, v75
	v_add_f32_e32 v80, v64, v76
	v_add_f32_e32 v77, v77, v74
	v_fmac_f32_e32 v78, 0x3f167918, v71
	v_add_f32_e32 v73, v73, v79
	v_fmac_f32_e32 v83, 0xbf167918, v71
	v_fma_f32 v29, -0.5, v80, v29
	v_sub_f32_e32 v72, v72, v64
	v_sub_f32_e32 v74, v74, v76
	v_fmac_f32_e32 v78, 0x3e9e377a, v73
	v_fmac_f32_e32 v83, 0x3e9e377a, v73
	v_fmamk_f32 v73, v71, 0xbf737871, v29
	v_add_f32_e32 v79, v33, v34
	v_fmac_f32_e32 v29, 0x3f737871, v71
	v_add_f32_e32 v71, v30, v32
	v_sub_f32_e32 v37, v37, v38
	v_add_f32_e32 v38, v72, v74
	v_add_f32_e32 v74, v32, v31
	v_fma_f32 v64, -0.5, v79, v30
	v_fmac_f32_e32 v73, 0x3f167918, v75
	v_fmac_f32_e32 v29, 0xbf167918, v75
	v_add_f32_e32 v71, v71, v33
	v_sub_f32_e32 v35, v35, v36
	v_fmac_f32_e32 v30, -0.5, v74
	v_fmamk_f32 v72, v37, 0x3f737871, v64
	v_fmac_f32_e32 v73, 0x3e9e377a, v38
	v_fmac_f32_e32 v29, 0x3e9e377a, v38
	v_add_f32_e32 v36, v71, v34
	v_sub_f32_e32 v38, v32, v33
	v_sub_f32_e32 v71, v31, v34
	v_fmac_f32_e32 v64, 0xbf737871, v37
	v_fmamk_f32 v74, v35, 0xbf737871, v30
	v_sub_f32_e32 v32, v33, v32
	v_sub_f32_e32 v33, v34, v31
	v_fmac_f32_e32 v30, 0x3f737871, v35
	v_fmac_f32_e32 v72, 0x3f167918, v35
	v_add_f32_e32 v34, v38, v71
	v_fmac_f32_e32 v64, 0xbf167918, v35
	v_fmac_f32_e32 v74, 0x3f167918, v37
	v_add_f32_e32 v32, v32, v33
	v_fmac_f32_e32 v30, 0xbf167918, v37
	v_fmac_f32_e32 v45, 0x3e9e377a, v96
	;; [unrolled: 1-line block ×5, first 2 shown]
	v_add_f32_e32 v77, v77, v76
	v_add_f32_e32 v31, v36, v31
	v_fmac_f32_e32 v72, 0x3e9e377a, v34
	v_fmac_f32_e32 v64, 0x3e9e377a, v34
	;; [unrolled: 1-line block ×4, first 2 shown]
	s_waitcnt lgkmcnt(0)
	s_barrier
	buffer_gl0_inv
	ds_write2_b32 v70, v41, v98 offset1:30
	ds_write2_b32 v70, v45, v5 offset0:60 offset1:90
	ds_write_b32 v70, v40 offset:480
	ds_write2_b32 v68, v42, v44 offset1:30
	ds_write2_b32 v68, v94, v39 offset0:60 offset1:90
	ds_write_b32 v68, v46 offset:480
	;; [unrolled: 3-line block ×5, first 2 shown]
	v_add_nc_u32_e32 v5, 0x800, v0
	v_add_nc_u32_e32 v6, 0x1400, v0
	;; [unrolled: 1-line block ×3, first 2 shown]
	s_waitcnt lgkmcnt(0)
	s_barrier
	buffer_gl0_inv
	ds_read2_b32 v[31:32], v0 offset1:180
	ds_read2_b32 v[29:30], v5 offset0:118 offset1:238
	ds_read2_b32 v[5:6], v6 offset0:100 offset1:220
	;; [unrolled: 1-line block ×3, first 2 shown]
	v_add_nc_u32_e32 v33, 0x400, v0
	v_add_nc_u32_e32 v34, 0xe00, v0
	;; [unrolled: 1-line block ×5, first 2 shown]
	ds_read2_b32 v[47:48], v47 offset0:54 offset1:144
	ds_read2_b32 v[35:36], v33 offset0:14 offset1:104
	;; [unrolled: 1-line block ×7, first 2 shown]
	ds_read_b32 v66, v49
	ds_read_b32 v67, v0 offset:8520
	s_and_saveexec_b32 s1, s0
	s_cbranch_execz .LBB0_31
; %bb.30:
	ds_read_b32 v60, v0 offset:5880
	ds_read_b32 v64, v61 offset:2880
	;; [unrolled: 1-line block ×3, first 2 shown]
.LBB0_31:
	s_or_b32 exec_lo, exec_lo, s1
	v_lshlrev_b32_e32 v68, 1, v90
	v_mov_b32_e32 v69, 0
	v_subrev_nc_u32_e32 v72, 60, v90
	v_cmp_gt_u32_e64 s1, 60, v90
	v_lshrrev_b16 v73, 1, v51
	v_mov_b32_e32 v77, 0xda75
	v_lshlrev_b64 v[70:71], 3, v[68:69]
	v_add_nc_u32_e32 v68, 60, v68
	v_mov_b32_e32 v76, v69
	v_cndmask_b32_e64 v78, v72, v91, s1
	v_mul_u32_u24_sdwa v79, v73, v77 dst_sel:DWORD dst_unused:UNUSED_PAD src0_sel:WORD_0 src1_sel:DWORD
	v_mov_b32_e32 v88, 4
	v_lshlrev_b64 v[68:69], 3, v[68:69]
	v_add_co_u32 v70, s1, s12, v70
	v_add_co_ci_u32_e64 v71, s1, s13, v71, s1
	v_lshlrev_b32_e32 v75, 1, v78
	v_add_co_u32 v68, s1, s12, v68
	v_add_co_ci_u32_e64 v69, s1, s13, v69, s1
	global_load_dwordx4 v[71:74], v[70:71], off offset:1120
	v_lshlrev_b64 v[75:76], 3, v[75:76]
	v_lshlrev_b32_e32 v78, 2, v78
	global_load_dwordx4 v[80:83], v[68:69], off offset:1120
	v_lshrrev_b32_e32 v70, 22, v79
	v_lshrrev_b16 v79, 1, v56
	v_add_co_u32 v75, s1, s12, v75
	v_mul_lo_u16 v84, 0x96, v70
	v_mul_u32_u24_sdwa v79, v79, v77 dst_sel:DWORD dst_unused:UNUSED_PAD src0_sel:WORD_0 src1_sel:DWORD
	v_add_co_ci_u32_e64 v76, s1, s13, v76, s1
	v_cmp_lt_u32_e64 s1, 59, v90
	v_sub_nc_u16 v69, v51, v84
	v_lshrrev_b32_e32 v68, 22, v79
	v_lshrrev_b16 v79, 1, v52
	global_load_dwordx4 v[84:87], v[75:76], off offset:1120
	v_lshrrev_b16 v76, 1, v55
	v_lshlrev_b32_sdwa v89, v88, v69 dst_sel:DWORD dst_unused:UNUSED_PAD src0_sel:DWORD src1_sel:WORD_0
	v_mul_lo_u16 v75, 0x96, v68
	v_mul_u32_u24_sdwa v79, v79, v77 dst_sel:DWORD dst_unused:UNUSED_PAD src0_sel:WORD_0 src1_sel:DWORD
	global_load_dwordx4 v[92:95], v89, s[12:13] offset:1120
	v_sub_nc_u16 v56, v56, v75
	v_mul_u32_u24_sdwa v75, v76, v77 dst_sel:DWORD dst_unused:UNUSED_PAD src0_sel:WORD_0 src1_sel:DWORD
	v_lshrrev_b32_e32 v76, 22, v79
	v_lshrrev_b16 v79, 1, v54
	v_lshlrev_b32_sdwa v88, v88, v56 dst_sel:DWORD dst_unused:UNUSED_PAD src0_sel:DWORD src1_sel:WORD_0
	v_lshrrev_b32_e32 v75, 22, v75
	v_mul_lo_u16 v76, 0x96, v76
	v_mul_u32_u24_sdwa v79, v79, v77 dst_sel:DWORD dst_unused:UNUSED_PAD src0_sel:WORD_0 src1_sel:DWORD
	global_load_dwordx4 v[96:99], v88, s[12:13] offset:1120
	v_lshrrev_b16 v89, 1, v53
	v_mul_lo_u16 v75, 0x96, v75
	v_sub_nc_u16 v76, v52, v76
	v_lshrrev_b32_e32 v79, 22, v79
	v_add_nc_u32_e32 v88, 0x600, v61
	v_mul_u32_u24_sdwa v77, v89, v77 dst_sel:DWORD dst_unused:UNUSED_PAD src0_sel:WORD_0 src1_sel:DWORD
	v_sub_nc_u16 v55, v55, v75
	v_and_b32_e32 v75, 0xffff, v76
	v_mul_u32_u24_e32 v89, 0x708, v68
	v_lshrrev_b32_e32 v76, 22, v77
	v_mul_lo_u16 v77, 0x96, v79
	v_and_b32_e32 v55, 0xffff, v55
	v_lshlrev_b32_e32 v79, 4, v75
	v_lshl_add_u32 v68, v75, 2, 0
	v_mul_lo_u16 v76, 0x96, v76
	v_sub_nc_u16 v54, v54, v77
	v_lshlrev_b32_e32 v77, 4, v55
	global_load_dwordx4 v[100:103], v79, s[12:13] offset:1120
	v_lshl_add_u32 v55, v55, 2, 0
	v_sub_nc_u16 v53, v53, v76
	v_and_b32_e32 v76, 0xffff, v54
	global_load_dwordx4 v[104:107], v77, s[12:13] offset:1120
	v_mul_u32_u24_e32 v79, 0x708, v70
	v_add_nc_u32_e32 v116, 0x1400, v55
	v_and_b32_e32 v53, 0xffff, v53
	v_lshlrev_b32_e32 v54, 4, v76
	v_lshlrev_b32_e32 v77, 4, v53
	s_clause 0x1
	global_load_dwordx4 v[108:111], v54, s[12:13] offset:1120
	global_load_dwordx4 v[112:115], v77, s[12:13] offset:1120
	v_mov_b32_e32 v54, 2
	v_cndmask_b32_e64 v77, 0, 0x708, s1
	s_waitcnt vmcnt(0) lgkmcnt(0)
	s_barrier
	buffer_gl0_inv
	v_lshlrev_b32_sdwa v69, v54, v69 dst_sel:DWORD dst_unused:UNUSED_PAD src0_sel:DWORD src1_sel:WORD_0
	v_lshlrev_b32_sdwa v54, v54, v56 dst_sel:DWORD dst_unused:UNUSED_PAD src0_sel:DWORD src1_sel:WORD_0
	v_lshl_add_u32 v56, v76, 2, 0
	v_add3_u32 v70, 0, v77, v78
	v_lshl_add_u32 v53, v53, 2, 0
	v_add3_u32 v69, 0, v79, v69
	v_add3_u32 v54, 0, v89, v54
	v_add_nc_u32_e32 v89, 0xe00, v68
	v_add_nc_u32_e32 v117, 0x1c00, v56
	v_mul_f32_e32 v75, v30, v72
	v_mul_f32_e32 v72, v8, v72
	;; [unrolled: 1-line block ×4, first 2 shown]
	v_fmac_f32_e32 v75, v8, v71
	v_fma_f32 v79, v30, v71, -v72
	v_fmac_f32_e32 v76, v16, v73
	v_fma_f32 v74, v6, v73, -v74
	v_mul_f32_e32 v71, v46, v81
	v_mul_f32_e32 v6, v28, v81
	;; [unrolled: 1-line block ×4, first 2 shown]
	v_add_f32_e32 v81, v75, v76
	v_fmac_f32_e32 v71, v28, v80
	v_fma_f32 v73, v46, v80, -v6
	v_add_f32_e32 v80, v13, v75
	v_mul_f32_e32 v77, v45, v85
	v_mul_f32_e32 v16, v27, v85
	;; [unrolled: 1-line block ×4, first 2 shown]
	v_fmac_f32_e32 v72, v26, v82
	v_fma_f32 v26, v48, v82, -v8
	v_sub_f32_e32 v82, v79, v74
	v_mul_f32_e32 v46, v41, v95
	v_mul_f32_e32 v28, v43, v93
	;; [unrolled: 1-line block ×4, first 2 shown]
	v_fmac_f32_e32 v77, v27, v84
	v_fma_f32 v48, v45, v84, -v16
	v_fmac_f32_e32 v78, v25, v86
	v_fma_f32 v45, v47, v86, -v30
	v_add_f32_e32 v47, v80, v76
	v_fma_f32 v80, -0.5, v81, v13
	v_fmac_f32_e32 v46, v21, v94
	v_mul_f32_e32 v8, v38, v99
	v_mul_f32_e32 v6, v40, v97
	v_mul_f32_e32 v87, v20, v97
	v_mul_f32_e32 v93, v18, v99
	v_fmac_f32_e32 v28, v23, v92
	v_fma_f32 v41, v41, v94, -v85
	v_fmac_f32_e32 v8, v18, v98
	v_add_f32_e32 v84, v71, v72
	v_fma_f32 v43, v43, v92, -v83
	v_fmac_f32_e32 v6, v20, v96
	v_fma_f32 v20, v40, v96, -v87
	v_fmamk_f32 v96, v82, 0xbf5db3d7, v80
	v_add_f32_e32 v97, v77, v78
	v_fmac_f32_e32 v80, 0x3f5db3d7, v82
	v_fma_f32 v13, v38, v98, -v93
	v_add_f32_e32 v82, v63, v77
	v_add_f32_e32 v81, v14, v71
	v_sub_f32_e32 v86, v73, v26
	v_sub_f32_e32 v98, v48, v45
	v_mul_f32_e32 v21, v44, v101
	v_mul_f32_e32 v25, v42, v103
	;; [unrolled: 1-line block ×6, first 2 shown]
	v_fmac_f32_e32 v21, v24, v100
	v_fmac_f32_e32 v25, v22, v102
	v_mul_f32_e32 v92, v19, v105
	v_mul_f32_e32 v94, v17, v107
	v_fmac_f32_e32 v23, v19, v104
	v_fmac_f32_e32 v27, v17, v106
	v_fma_f32 v22, v42, v102, -v85
	v_add_f32_e32 v42, v28, v46
	v_fmac_f32_e32 v14, -0.5, v84
	v_mul_f32_e32 v16, v5, v109
	v_mul_f32_e32 v18, v67, v111
	;; [unrolled: 1-line block ×6, first 2 shown]
	v_fmac_f32_e32 v16, v15, v108
	v_fmac_f32_e32 v18, v65, v110
	v_fma_f32 v24, v44, v100, -v83
	v_fmac_f32_e32 v63, -0.5, v97
	ds_write2_b32 v0, v47, v96 offset1:150
	ds_write_b32 v0, v80 offset:1200
	v_add_f32_e32 v47, v21, v25
	v_mul_f32_e32 v38, v59, v115
	v_mul_f32_e32 v95, v57, v115
	v_fma_f32 v19, v39, v104, -v92
	v_fma_f32 v17, v37, v106, -v94
	v_fmac_f32_e32 v30, v58, v112
	v_fma_f32 v39, v60, v112, -v93
	v_add_f32_e32 v58, v6, v8
	v_add_f32_e32 v60, v82, v78
	;; [unrolled: 1-line block ×3, first 2 shown]
	v_fma_f32 v15, v5, v108, -v40
	v_fma_f32 v5, v67, v110, -v87
	v_add_f32_e32 v40, v11, v28
	v_sub_f32_e32 v44, v43, v41
	v_fma_f32 v11, -0.5, v42, v11
	v_add_f32_e32 v84, v16, v18
	v_fmamk_f32 v65, v86, 0xbf5db3d7, v14
	v_fmac_f32_e32 v14, 0x3f5db3d7, v86
	v_add_f32_e32 v42, v12, v21
	v_sub_f32_e32 v67, v24, v22
	v_fmamk_f32 v86, v98, 0xbf5db3d7, v63
	v_fmac_f32_e32 v12, -0.5, v47
	v_fmac_f32_e32 v63, 0x3f5db3d7, v98
	v_add_f32_e32 v81, v81, v72
	v_fmac_f32_e32 v38, v57, v114
	v_fma_f32 v37, v59, v114, -v95
	v_add_f32_e32 v57, v10, v6
	v_sub_f32_e32 v59, v20, v13
	v_add_f32_e32 v80, v9, v23
	v_sub_f32_e32 v83, v19, v17
	v_fmac_f32_e32 v10, -0.5, v58
	v_fma_f32 v9, -0.5, v82, v9
	v_add_f32_e32 v40, v40, v46
	v_add_f32_e32 v58, v7, v16
	v_sub_f32_e32 v85, v15, v5
	v_fmamk_f32 v87, v44, 0xbf5db3d7, v11
	v_fmac_f32_e32 v7, -0.5, v84
	v_fmac_f32_e32 v11, 0x3f5db3d7, v44
	v_add_f32_e32 v42, v42, v25
	ds_write2_b32 v70, v60, v86 offset1:150
	ds_write_b32 v70, v63 offset:1200
	ds_write2_b32 v88, v81, v65 offset0:96 offset1:246
	ds_write_b32 v61, v14 offset:3120
	v_fmamk_f32 v14, v67, 0xbf5db3d7, v12
	v_fmac_f32_e32 v12, 0x3f5db3d7, v67
	v_add_f32_e32 v44, v80, v27
	v_fmamk_f32 v47, v59, 0xbf5db3d7, v10
	v_fmac_f32_e32 v10, 0x3f5db3d7, v59
	v_fmamk_f32 v59, v83, 0xbf5db3d7, v9
	v_add_f32_e32 v57, v57, v8
	v_add_f32_e32 v58, v58, v18
	v_fmac_f32_e32 v9, 0x3f5db3d7, v83
	v_fmamk_f32 v60, v85, 0xbf5db3d7, v7
	v_fmac_f32_e32 v7, 0x3f5db3d7, v85
	ds_write2_b32 v69, v40, v87 offset1:150
	ds_write_b32 v69, v11 offset:1200
	ds_write2_b32 v89, v42, v14 offset0:4 offset1:154
	ds_write_b32 v68, v12 offset:4800
	ds_write2_b32 v116, v44, v59 offset0:70 offset1:220
	ds_write_b32 v55, v9 offset:6600
	ds_write2_b32 v54, v57, v47 offset1:150
	ds_write_b32 v54, v10 offset:1200
	ds_write2_b32 v117, v58, v60 offset0:8 offset1:158
	ds_write_b32 v56, v7 offset:8400
	s_and_saveexec_b32 s1, s0
	s_cbranch_execz .LBB0_33
; %bb.32:
	v_add_f32_e32 v7, v30, v38
	v_sub_f32_e32 v9, v39, v37
	v_add_f32_e32 v10, v62, v30
	v_add_nc_u32_e32 v11, 0x1c00, v53
	v_fma_f32 v7, -0.5, v7, v62
	v_add_f32_e32 v10, v10, v38
	v_fmamk_f32 v12, v9, 0x3f5db3d7, v7
	v_fmac_f32_e32 v7, 0xbf5db3d7, v9
	ds_write2_b32 v11, v10, v7 offset0:8 offset1:158
	ds_write_b32 v53, v12 offset:8400
.LBB0_33:
	s_or_b32 exec_lo, exec_lo, s1
	v_add_f32_e32 v7, v79, v74
	v_add_f32_e32 v9, v31, v79
	v_sub_f32_e32 v10, v75, v76
	v_add_f32_e32 v11, v48, v45
	v_sub_f32_e32 v12, v77, v78
	v_fma_f32 v31, -0.5, v7, v31
	v_add_f32_e32 v7, v66, v48
	v_add_f32_e32 v40, v9, v74
	;; [unrolled: 1-line block ×3, first 2 shown]
	v_fmac_f32_e32 v66, -0.5, v11
	v_fmamk_f32 v42, v10, 0x3f5db3d7, v31
	v_add_f32_e32 v44, v7, v45
	v_add_f32_e32 v7, v73, v26
	v_fmac_f32_e32 v31, 0xbf5db3d7, v10
	v_add_f32_e32 v10, v43, v41
	v_add_f32_e32 v47, v9, v26
	;; [unrolled: 1-line block ×3, first 2 shown]
	v_fmac_f32_e32 v32, -0.5, v7
	v_sub_f32_e32 v7, v71, v72
	v_fma_f32 v35, -0.5, v10, v35
	v_sub_f32_e32 v10, v28, v46
	v_add_f32_e32 v46, v9, v41
	v_add_f32_e32 v9, v36, v24
	v_fmamk_f32 v43, v7, 0x3f5db3d7, v32
	v_fmac_f32_e32 v32, 0xbf5db3d7, v7
	v_add_f32_e32 v7, v24, v22
	v_fmamk_f32 v48, v10, 0x3f5db3d7, v35
	v_fmac_f32_e32 v35, 0xbf5db3d7, v10
	v_add_f32_e32 v10, v19, v17
	v_add_f32_e32 v57, v9, v22
	v_fmac_f32_e32 v36, -0.5, v7
	v_sub_f32_e32 v7, v21, v25
	v_add_f32_e32 v9, v33, v19
	v_fma_f32 v33, -0.5, v10, v33
	v_sub_f32_e32 v10, v23, v27
	v_sub_f32_e32 v6, v6, v8
	v_fmamk_f32 v58, v7, 0x3f5db3d7, v36
	v_fmac_f32_e32 v36, 0xbf5db3d7, v7
	v_add_f32_e32 v7, v20, v13
	v_add_f32_e32 v59, v9, v17
	v_fmamk_f32 v60, v10, 0x3f5db3d7, v33
	v_fmac_f32_e32 v33, 0xbf5db3d7, v10
	v_add_f32_e32 v9, v15, v5
	v_add_f32_e32 v10, v34, v20
	v_fmac_f32_e32 v34, -0.5, v7
	v_add_f32_e32 v7, v29, v15
	v_sub_f32_e32 v8, v16, v18
	v_fmac_f32_e32 v29, -0.5, v9
	v_add_f32_e32 v62, v10, v13
	v_add_nc_u32_e32 v9, 0xc00, v0
	v_add_nc_u32_e32 v10, 0x1400, v0
	v_add_f32_e32 v65, v7, v5
	v_add_nc_u32_e32 v7, 0x600, v0
	v_add_nc_u32_e32 v13, 0x1a00, v0
	;; [unrolled: 1-line block ×4, first 2 shown]
	v_fmamk_f32 v45, v12, 0x3f5db3d7, v66
	v_fmac_f32_e32 v66, 0xbf5db3d7, v12
	v_fmamk_f32 v63, v6, 0x3f5db3d7, v34
	v_fmac_f32_e32 v34, 0xbf5db3d7, v6
	;; [unrolled: 2-line block ×3, first 2 shown]
	s_waitcnt lgkmcnt(0)
	s_barrier
	buffer_gl0_inv
	ds_read2_b32 v[5:6], v0 offset1:180
	ds_read2_b32 v[7:8], v7 offset0:66 offset1:156
	ds_read2_b32 v[11:12], v9 offset0:42 offset1:132
	;; [unrolled: 1-line block ×4, first 2 shown]
	ds_read_b32 v41, v49
	ds_read2_b32 v[27:28], v14 offset0:94 offset1:184
	ds_read2_b32 v[21:22], v17 offset0:98 offset1:188
	v_add_nc_u32_e32 v13, 0x800, v0
	v_add_nc_u32_e32 v14, 0x1600, v0
	;; [unrolled: 1-line block ×5, first 2 shown]
	ds_read2_b32 v[17:18], v13 offset0:118 offset1:208
	ds_read2_b32 v[19:20], v14 offset0:122 offset1:212
	;; [unrolled: 1-line block ×5, first 2 shown]
	v_add_nc_u32_e32 v71, 0x600, v61
	s_waitcnt lgkmcnt(0)
	s_barrier
	buffer_gl0_inv
	ds_write2_b32 v0, v40, v42 offset1:150
	ds_write_b32 v0, v31 offset:1200
	ds_write2_b32 v70, v44, v45 offset1:150
	ds_write_b32 v70, v66 offset:1200
	ds_write2_b32 v71, v47, v43 offset0:96 offset1:246
	v_add_nc_u32_e32 v31, 0xe00, v68
	ds_write_b32 v61, v32 offset:3120
	ds_write2_b32 v69, v46, v48 offset1:150
	v_add_nc_u32_e32 v32, 0x1400, v55
	ds_write_b32 v69, v35 offset:1200
	ds_write2_b32 v31, v57, v58 offset0:4 offset1:154
	ds_write_b32 v68, v36 offset:4800
	v_add_nc_u32_e32 v31, 0x1c00, v56
	ds_write2_b32 v32, v59, v60 offset0:70 offset1:220
	ds_write_b32 v55, v33 offset:6600
	ds_write2_b32 v54, v62, v63 offset1:150
	ds_write_b32 v54, v34 offset:1200
	ds_write2_b32 v31, v65, v67 offset0:8 offset1:158
	ds_write_b32 v56, v29 offset:8400
	s_and_saveexec_b32 s1, s0
	s_cbranch_execz .LBB0_35
; %bb.34:
	v_add_f32_e32 v29, v39, v37
	v_add_f32_e32 v31, v64, v39
	v_sub_f32_e32 v30, v30, v38
	v_fmac_f32_e32 v64, -0.5, v29
	v_add_nc_u32_e32 v29, 0x1c00, v53
	v_add_f32_e32 v31, v31, v37
	v_fmamk_f32 v32, v30, 0x3f5db3d7, v64
	v_fmamk_f32 v30, v30, 0xbf5db3d7, v64
	ds_write2_b32 v29, v31, v32 offset0:8 offset1:158
	ds_write_b32 v53, v30 offset:8400
.LBB0_35:
	s_or_b32 exec_lo, exec_lo, s1
	s_waitcnt lgkmcnt(0)
	s_barrier
	buffer_gl0_inv
	s_and_saveexec_b32 s0, vcc_lo
	s_cbranch_execz .LBB0_37
; %bb.36:
	v_lshlrev_b32_e32 v46, 2, v52
	v_mov_b32_e32 v47, 0
	v_mul_lo_u32 v95, s5, v3
	v_add_nc_u32_e32 v74, 0x1a00, v0
	v_add_nc_u32_e32 v78, 0x2000, v0
	v_mul_lo_u32 v96, s4, v4
	v_lshlrev_b64 v[29:30], 3, v[46:47]
	v_lshlrev_b32_e32 v46, 2, v51
	v_add_nc_u32_e32 v82, 0x400, v0
	v_add_nc_u32_e32 v83, 0x800, v0
	;; [unrolled: 1-line block ×4, first 2 shown]
	v_add_co_u32 v31, vcc_lo, s12, v29
	v_add_co_ci_u32_e32 v32, vcc_lo, s13, v30, vcc_lo
	v_lshlrev_b64 v[37:38], 3, v[46:47]
	v_add_co_u32 v29, vcc_lo, 0x800, v31
	v_add_co_ci_u32_e32 v30, vcc_lo, 0, v32, vcc_lo
	v_add_co_u32 v33, vcc_lo, 0xdc0, v31
	v_add_co_ci_u32_e32 v34, vcc_lo, 0, v32, vcc_lo
	v_add_co_u32 v39, vcc_lo, s12, v37
	v_lshlrev_b32_e32 v46, 2, v50
	v_add_co_ci_u32_e32 v40, vcc_lo, s13, v38, vcc_lo
	v_add_co_u32 v37, vcc_lo, 0x800, v39
	v_lshlrev_b64 v[50:51], 3, v[46:47]
	v_add_co_ci_u32_e32 v38, vcc_lo, 0, v40, vcc_lo
	v_add_co_u32 v42, vcc_lo, 0xdc0, v39
	v_add_co_ci_u32_e32 v43, vcc_lo, 0, v40, vcc_lo
	v_add_co_u32 v46, vcc_lo, s12, v50
	v_add_co_ci_u32_e32 v48, vcc_lo, s13, v51, vcc_lo
	s_clause 0x1
	global_load_dwordx4 v[29:32], v[29:30], off offset:1472
	global_load_dwordx4 v[33:36], v[33:34], off offset:16
	v_add_co_u32 v50, vcc_lo, 0x800, v46
	v_add_co_ci_u32_e32 v51, vcc_lo, 0, v48, vcc_lo
	v_add_co_u32 v54, vcc_lo, 0xdc0, v46
	v_lshlrev_b32_e32 v46, 2, v91
	v_add_co_ci_u32_e32 v55, vcc_lo, 0, v48, vcc_lo
	s_clause 0x3
	global_load_dwordx4 v[37:40], v[37:38], off offset:1472
	global_load_dwordx4 v[42:45], v[42:43], off offset:16
	;; [unrolled: 1-line block ×4, first 2 shown]
	v_lshlrev_b64 v[58:59], 3, v[46:47]
	v_add_nc_u32_e32 v88, 0x1c00, v0
	v_add_nc_u32_e32 v91, 0x600, v0
	v_add_co_u32 v46, vcc_lo, s12, v58
	v_add_co_ci_u32_e32 v48, vcc_lo, s13, v59, vcc_lo
	v_add_co_u32 v58, vcc_lo, 0x800, v46
	v_add_co_ci_u32_e32 v59, vcc_lo, 0, v48, vcc_lo
	;; [unrolled: 2-line block ×3, first 2 shown]
	s_clause 0x1
	global_load_dwordx4 v[58:61], v[58:59], off offset:1472
	global_load_dwordx4 v[62:65], v[62:63], off offset:16
	v_lshlrev_b32_e32 v46, 2, v90
	v_lshlrev_b64 v[46:47], 3, v[46:47]
	v_add_co_u32 v48, vcc_lo, s12, v46
	v_add_co_ci_u32_e32 v66, vcc_lo, s13, v47, vcc_lo
	v_add_co_u32 v46, vcc_lo, 0x800, v48
	v_add_co_ci_u32_e32 v47, vcc_lo, 0, v66, vcc_lo
	;; [unrolled: 2-line block ×3, first 2 shown]
	s_clause 0x1
	global_load_dwordx4 v[66:69], v[46:47], off offset:1472
	global_load_dwordx4 v[70:73], v[70:71], off offset:16
	v_mad_u64_u32 v[46:47], null, s4, v3, 0
	v_add_nc_u32_e32 v3, 0x1000, v0
	v_add_nc_u32_e32 v48, 0xc00, v0
	ds_read2_b32 v[3:4], v3 offset0:146 offset1:236
	ds_read2_b32 v[74:75], v74 offset0:46 offset1:136
	;; [unrolled: 1-line block ×4, first 2 shown]
	ds_read2_b32 v[80:81], v0 offset1:180
	v_add_nc_u32_e32 v0, 0x1400, v0
	ds_read_b32 v97, v49
	ds_read2_b32 v[48:49], v82 offset0:14 offset1:104
	ds_read2_b32 v[82:83], v83 offset0:118 offset1:208
	;; [unrolled: 1-line block ×7, first 2 shown]
	v_add3_u32 v47, v47, v96, v95
	v_lshlrev_b64 v[46:47], 3, v[46:47]
	s_waitcnt vmcnt(9)
	v_mul_f32_e32 v0, v24, v32
	v_mul_f32_e32 v95, v11, v30
	s_waitcnt vmcnt(8)
	v_mul_f32_e32 v96, v9, v34
	v_mul_f32_e32 v98, v14, v36
	s_waitcnt lgkmcnt(12)
	v_mul_f32_e32 v32, v4, v32
	s_waitcnt lgkmcnt(11)
	;; [unrolled: 2-line block ×4, first 2 shown]
	v_mul_f32_e32 v36, v79, v36
	v_fma_f32 v0, v31, v4, -v0
	v_fma_f32 v4, v29, v76, -v95
	;; [unrolled: 1-line block ×4, first 2 shown]
	v_fmac_f32_e32 v32, v24, v31
	v_fmac_f32_e32 v34, v9, v33
	;; [unrolled: 1-line block ×4, first 2 shown]
	s_waitcnt vmcnt(7)
	v_mul_f32_e32 v9, v23, v40
	v_mul_f32_e32 v11, v18, v38
	s_waitcnt vmcnt(6)
	v_mul_f32_e32 v14, v20, v43
	v_mul_f32_e32 v24, v13, v45
	;; [unrolled: 1-line block ×3, first 2 shown]
	s_waitcnt lgkmcnt(4)
	v_mul_f32_e32 v31, v85, v43
	v_mul_f32_e32 v33, v83, v38
	;; [unrolled: 1-line block ×3, first 2 shown]
	v_sub_f32_e32 v35, v0, v4
	v_sub_f32_e32 v40, v74, v76
	v_add_f32_e32 v45, v4, v76
	v_sub_f32_e32 v79, v30, v36
	v_add_f32_e32 v98, v0, v74
	v_sub_f32_e32 v100, v32, v30
	v_sub_f32_e32 v101, v34, v36
	v_add_f32_e32 v103, v30, v36
	v_sub_f32_e32 v105, v30, v32
	v_sub_f32_e32 v106, v36, v34
	v_add_f32_e32 v107, v32, v34
	v_add_f32_e32 v30, v26, v30
	v_fma_f32 v9, v39, v3, -v9
	v_fma_f32 v11, v37, v83, -v11
	;; [unrolled: 1-line block ×4, first 2 shown]
	v_fmac_f32_e32 v29, v23, v39
	v_fmac_f32_e32 v31, v20, v42
	;; [unrolled: 1-line block ×4, first 2 shown]
	s_waitcnt vmcnt(5)
	v_mul_f32_e32 v18, v28, v53
	v_mul_f32_e32 v20, v17, v51
	s_waitcnt vmcnt(4)
	v_mul_f32_e32 v23, v19, v55
	v_mul_f32_e32 v24, v22, v57
	s_waitcnt lgkmcnt(3)
	v_mul_f32_e32 v37, v87, v53
	v_mul_f32_e32 v39, v84, v55
	;; [unrolled: 1-line block ×3, first 2 shown]
	s_waitcnt lgkmcnt(2)
	v_mul_f32_e32 v51, v89, v57
	v_sub_f32_e32 v43, v32, v34
	v_sub_f32_e32 v95, v4, v0
	v_add_f32_e32 v99, v4, v49
	v_sub_f32_e32 v102, v4, v76
	v_add_f32_e32 v40, v35, v40
	v_fma_f32 v4, -0.5, v45, v49
	v_fma_f32 v14, -0.5, v98, v49
	v_add_f32_e32 v45, v100, v101
	v_fma_f32 v3, -0.5, v103, v26
	v_add_f32_e32 v49, v105, v106
	;; [unrolled: 2-line block ×3, first 2 shown]
	v_sub_f32_e32 v30, v9, v11
	v_sub_f32_e32 v32, v83, v78
	v_add_f32_e32 v35, v11, v78
	v_sub_f32_e32 v55, v33, v38
	v_sub_f32_e32 v57, v11, v9
	;; [unrolled: 1-line block ×4, first 2 shown]
	v_add_f32_e32 v100, v33, v38
	v_sub_f32_e32 v103, v33, v29
	v_sub_f32_e32 v105, v38, v31
	v_add_f32_e32 v33, v25, v33
	v_fma_f32 v87, v52, v87, -v18
	v_fma_f32 v82, v50, v82, -v20
	;; [unrolled: 1-line block ×4, first 2 shown]
	v_fmac_f32_e32 v37, v28, v52
	v_fmac_f32_e32 v39, v19, v54
	v_fmac_f32_e32 v42, v17, v50
	v_fmac_f32_e32 v51, v22, v56
	s_waitcnt vmcnt(3)
	v_mul_f32_e32 v22, v27, v61
	v_mul_f32_e32 v28, v8, v59
	s_waitcnt vmcnt(2)
	v_mul_f32_e32 v50, v16, v63
	v_mul_f32_e32 v52, v21, v65
	v_sub_f32_e32 v96, v76, v74
	v_sub_f32_e32 v104, v0, v74
	v_add_f32_e32 v0, v0, v99
	v_sub_f32_e32 v53, v29, v31
	v_add_f32_e32 v106, v29, v31
	v_mul_f32_e32 v54, v86, v61
	s_waitcnt lgkmcnt(0)
	v_mul_f32_e32 v56, v94, v63
	v_mul_f32_e32 v59, v92, v59
	;; [unrolled: 1-line block ×3, first 2 shown]
	v_fmamk_f32 v20, v43, 0x3f737871, v4
	v_fmac_f32_e32 v4, 0xbf737871, v43
	v_fmamk_f32 v18, v79, 0xbf737871, v14
	v_fmac_f32_e32 v14, 0x3f737871, v79
	v_add_f32_e32 v63, v30, v32
	v_fma_f32 v24, -0.5, v35, v48
	v_add_f32_e32 v57, v57, v85
	v_fma_f32 v23, -0.5, v100, v25
	v_add_f32_e32 v65, v103, v105
	v_add_f32_e32 v29, v29, v33
	v_sub_f32_e32 v32, v87, v82
	v_sub_f32_e32 v33, v84, v89
	v_add_f32_e32 v35, v82, v89
	v_sub_f32_e32 v85, v42, v51
	v_sub_f32_e32 v100, v37, v42
	v_add_f32_e32 v105, v42, v51
	v_sub_f32_e32 v107, v42, v37
	v_add_f32_e32 v109, v37, v39
	v_add_f32_e32 v42, v6, v42
	v_fma_f32 v86, v60, v86, -v22
	v_fma_f32 v92, v58, v92, -v28
	;; [unrolled: 1-line block ×4, first 2 shown]
	v_add_f32_e32 v44, v95, v96
	v_add_f32_e32 v95, v9, v83
	;; [unrolled: 1-line block ×3, first 2 shown]
	v_sub_f32_e32 v99, v31, v38
	v_add_f32_e32 v0, v74, v0
	v_fmamk_f32 v17, v102, 0x3f737871, v13
	v_fmac_f32_e32 v13, 0xbf737871, v102
	v_fmac_f32_e32 v54, v27, v60
	;; [unrolled: 1-line block ×8, first 2 shown]
	v_add_f32_e32 v16, v29, v31
	v_add_f32_e32 v58, v32, v33
	v_fma_f32 v32, -0.5, v35, v81
	v_fma_f32 v31, -0.5, v105, v6
	;; [unrolled: 1-line block ×3, first 2 shown]
	v_add_f32_e32 v6, v37, v42
	v_sub_f32_e32 v42, v86, v92
	v_sub_f32_e32 v43, v50, v52
	v_add_f32_e32 v79, v92, v52
	v_sub_f32_e32 v101, v9, v83
	v_add_f32_e32 v34, v26, v34
	v_fma_f32 v26, -0.5, v95, v48
	v_add_f32_e32 v30, v9, v96
	v_add_f32_e32 v48, v98, v99
	;; [unrolled: 1-line block ×4, first 2 shown]
	v_fmac_f32_e32 v61, v21, v64
	v_add_f32_e32 v9, v76, v0
	v_fmac_f32_e32 v17, 0x3f167918, v104
	v_fmac_f32_e32 v13, 0xbf167918, v104
	v_sub_f32_e32 v76, v54, v56
	v_add_f32_e32 v29, v16, v38
	v_add_f32_e32 v16, v42, v43
	v_fma_f32 v43, -0.5, v79, v97
	v_sub_f32_e32 v11, v11, v78
	v_fma_f32 v25, -0.5, v106, v25
	v_sub_f32_e32 v74, v37, v39
	v_add_f32_e32 v8, v34, v36
	v_add_f32_e32 v0, v83, v30
	v_fmamk_f32 v27, v101, 0xbf737871, v23
	v_fmac_f32_e32 v23, 0x3f737871, v101
	v_fma_f32 v36, -0.5, v98, v81
	v_add_f32_e32 v33, v87, v99
	v_sub_f32_e32 v81, v59, v61
	v_add_f32_e32 v94, v92, v97
	v_fmac_f32_e32 v17, 0x3e9e377a, v49
	v_fmac_f32_e32 v13, 0x3e9e377a, v49
	v_fmamk_f32 v49, v76, 0x3f737871, v43
	v_fmac_f32_e32 v43, 0xbf737871, v76
	v_sub_f32_e32 v95, v82, v87
	v_sub_f32_e32 v96, v89, v84
	;; [unrolled: 1-line block ×4, first 2 shown]
	v_fmamk_f32 v21, v11, 0x3f737871, v25
	v_fmac_f32_e32 v25, 0xbf737871, v11
	v_add_f32_e32 v30, v78, v0
	v_fmac_f32_e32 v27, 0x3f167918, v11
	v_fmac_f32_e32 v23, 0xbf167918, v11
	v_fmamk_f32 v38, v74, 0x3f737871, v32
	v_fmac_f32_e32 v32, 0xbf737871, v74
	v_fmamk_f32 v34, v85, 0xbf737871, v36
	v_fmac_f32_e32 v36, 0x3f737871, v85
	v_add_f32_e32 v0, v84, v33
	v_add_f32_e32 v6, v6, v39
	;; [unrolled: 1-line block ×3, first 2 shown]
	v_fmac_f32_e32 v49, 0xbf167918, v81
	v_fmac_f32_e32 v43, 0x3f167918, v81
	v_sub_f32_e32 v103, v39, v51
	v_fmamk_f32 v19, v104, 0xbf737871, v3
	v_fmac_f32_e32 v3, 0x3f737871, v104
	v_sub_f32_e32 v108, v51, v39
	v_add_f32_e32 v60, v95, v96
	v_fmac_f32_e32 v20, 0x3e9e377a, v40
	v_fmac_f32_e32 v4, 0x3e9e377a, v40
	v_fmamk_f32 v37, v106, 0xbf737871, v31
	v_fmac_f32_e32 v31, 0x3f737871, v106
	v_fmamk_f32 v33, v82, 0x3f737871, v35
	v_fmac_f32_e32 v35, 0xbf737871, v82
	v_fmac_f32_e32 v38, 0xbf167918, v85
	;; [unrolled: 1-line block ×5, first 2 shown]
	v_add_f32_e32 v40, v89, v0
	v_add_f32_e32 v39, v6, v51
	;; [unrolled: 1-line block ×3, first 2 shown]
	v_fmac_f32_e32 v49, 0x3e9e377a, v16
	v_fmac_f32_e32 v43, 0x3e9e377a, v16
	s_waitcnt vmcnt(1)
	v_mul_f32_e32 v6, v7, v67
	s_waitcnt vmcnt(0)
	v_mul_f32_e32 v16, v10, v73
	v_add_f32_e32 v62, v100, v103
	v_add_f32_e32 v103, v54, v56
	v_fmac_f32_e32 v19, 0x3f167918, v102
	v_fmac_f32_e32 v3, 0xbf167918, v102
	v_fmamk_f32 v28, v53, 0x3f737871, v24
	v_fmac_f32_e32 v24, 0xbf737871, v53
	v_add_f32_e32 v64, v107, v108
	v_sub_f32_e32 v83, v92, v86
	v_sub_f32_e32 v87, v52, v50
	v_add_f32_e32 v88, v86, v50
	v_sub_f32_e32 v92, v92, v52
	v_add_f32_e32 v98, v59, v61
	v_fmac_f32_e32 v37, 0x3f167918, v82
	v_fmac_f32_e32 v31, 0xbf167918, v82
	;; [unrolled: 1-line block ×8, first 2 shown]
	v_add_f32_e32 v11, v52, v0
	v_mul_f32_e32 v52, v12, v69
	v_fma_f32 v6, v66, v91, -v6
	v_mul_f32_e32 v60, v77, v69
	v_fma_f32 v58, v72, v75, -v16
	v_mul_f32_e32 v16, v15, v71
	v_fmac_f32_e32 v18, 0x3e9e377a, v44
	v_fmac_f32_e32 v14, 0x3e9e377a, v44
	v_fma_f32 v44, -0.5, v103, v41
	v_sub_f32_e32 v95, v54, v59
	v_sub_f32_e32 v100, v59, v54
	v_fmac_f32_e32 v19, 0x3e9e377a, v45
	v_fmac_f32_e32 v3, 0x3e9e377a, v45
	;; [unrolled: 1-line block ×4, first 2 shown]
	v_fma_f32 v45, -0.5, v88, v97
	v_fma_f32 v42, -0.5, v98, v41
	v_fmac_f32_e32 v37, 0x3e9e377a, v62
	v_fmac_f32_e32 v31, 0x3e9e377a, v62
	;; [unrolled: 1-line block ×4, first 2 shown]
	v_add_f32_e32 v41, v41, v59
	v_mul_f32_e32 v62, v93, v71
	v_fma_f32 v52, v68, v77, -v52
	v_fmac_f32_e32 v60, v12, v68
	v_add_f32_e32 v12, v6, v58
	v_mul_f32_e32 v64, v75, v73
	v_fma_f32 v59, v70, v93, -v16
	v_sub_f32_e32 v99, v86, v50
	v_sub_f32_e32 v102, v61, v56
	v_fmamk_f32 v50, v92, 0x3f737871, v44
	v_fmac_f32_e32 v44, 0xbf737871, v92
	v_fmamk_f32 v22, v55, 0xbf737871, v26
	v_fmac_f32_e32 v26, 0x3f737871, v55
	v_fmac_f32_e32 v28, 0x3e9e377a, v63
	;; [unrolled: 1-line block ×3, first 2 shown]
	v_fmamk_f32 v51, v81, 0xbf737871, v45
	v_fmac_f32_e32 v45, 0x3f737871, v81
	v_fmac_f32_e32 v62, v15, v70
	v_mul_f32_e32 v63, v91, v67
	v_fma_f32 v16, -0.5, v12, v80
	v_fmac_f32_e32 v64, v10, v72
	v_add_f32_e32 v10, v54, v41
	v_sub_f32_e32 v12, v52, v6
	v_sub_f32_e32 v41, v59, v58
	v_add_f32_e32 v0, v100, v102
	v_fmac_f32_e32 v50, 0x3f167918, v99
	v_fmac_f32_e32 v44, 0xbf167918, v99
	v_sub_f32_e32 v96, v56, v61
	v_fmac_f32_e32 v22, 0xbf167918, v53
	v_fmac_f32_e32 v26, 0x3f167918, v53
	v_add_f32_e32 v53, v83, v87
	v_fmac_f32_e32 v27, 0x3e9e377a, v48
	v_fmac_f32_e32 v23, 0x3e9e377a, v48
	v_fmamk_f32 v48, v99, 0xbf737871, v42
	v_fmac_f32_e32 v42, 0x3f737871, v99
	v_fmac_f32_e32 v51, 0xbf167918, v76
	;; [unrolled: 1-line block ×3, first 2 shown]
	v_sub_f32_e32 v15, v60, v62
	v_fmac_f32_e32 v63, v7, v66
	v_add_f32_e32 v12, v12, v41
	v_add_f32_e32 v41, v52, v59
	v_fmac_f32_e32 v50, 0x3e9e377a, v0
	v_fmac_f32_e32 v44, 0x3e9e377a, v0
	v_add_f32_e32 v0, v6, v80
	v_add_f32_e32 v55, v95, v96
	v_fmac_f32_e32 v48, 0x3f167918, v92
	v_fmac_f32_e32 v42, 0xbf167918, v92
	;; [unrolled: 1-line block ×4, first 2 shown]
	v_fmamk_f32 v7, v15, 0x3f737871, v16
	v_sub_f32_e32 v54, v63, v64
	v_fma_f32 v53, -0.5, v41, v80
	v_fmac_f32_e32 v16, 0xbf737871, v15
	v_add_f32_e32 v0, v52, v0
	v_fmac_f32_e32 v48, 0x3e9e377a, v55
	v_fmac_f32_e32 v42, 0x3e9e377a, v55
	;; [unrolled: 1-line block ×3, first 2 shown]
	v_fmamk_f32 v55, v54, 0xbf737871, v53
	v_fmac_f32_e32 v53, 0x3f737871, v54
	v_fmac_f32_e32 v16, 0x3f167918, v54
	v_mul_hi_u32 v54, 0x91a2b3c5, v90
	v_add_f32_e32 v10, v10, v56
	v_sub_f32_e32 v41, v6, v52
	v_sub_f32_e32 v56, v58, v59
	v_add_f32_e32 v0, v59, v0
	v_fmac_f32_e32 v55, 0xbf167918, v15
	v_fmac_f32_e32 v53, 0x3f167918, v15
	;; [unrolled: 1-line block ×3, first 2 shown]
	v_add_f32_e32 v41, v41, v56
	v_fmac_f32_e32 v26, 0x3e9e377a, v57
	v_add_f32_e32 v57, v58, v0
	v_lshrrev_b32_e32 v0, 8, v54
	v_add_f32_e32 v15, v63, v64
	v_fmac_f32_e32 v7, 0x3e9e377a, v12
	v_fmac_f32_e32 v16, 0x3e9e377a, v12
	;; [unrolled: 1-line block ×4, first 2 shown]
	v_sub_f32_e32 v12, v52, v59
	v_sub_f32_e32 v41, v60, v63
	v_sub_f32_e32 v52, v62, v64
	v_fmac_f32_e32 v21, 0x3f167918, v101
	v_fmac_f32_e32 v25, 0xbf167918, v101
	v_mul_u32_u24_e32 v0, 0x1c2, v0
	v_fma_f32 v15, -0.5, v15, v5
	v_add_f32_e32 v41, v41, v52
	v_add_f32_e32 v52, v60, v62
	v_fmac_f32_e32 v21, 0x3e9e377a, v65
	v_fmac_f32_e32 v25, 0x3e9e377a, v65
	v_sub_nc_u32_e32 v65, v90, v0
	v_sub_f32_e32 v56, v6, v58
	v_fmamk_f32 v6, v12, 0xbf737871, v15
	v_fmac_f32_e32 v15, 0x3f737871, v12
	v_fma_f32 v52, -0.5, v52, v5
	v_add_f32_e32 v5, v5, v63
	v_mad_u64_u32 v[58:59], null, s2, v65, 0
	v_add_f32_e32 v10, v10, v61
	v_fmac_f32_e32 v6, 0x3f167918, v56
	v_fmac_f32_e32 v15, 0xbf167918, v56
	v_sub_f32_e32 v0, v63, v60
	v_sub_f32_e32 v61, v64, v62
	v_add_f32_e32 v5, v60, v5
	v_fmac_f32_e32 v6, 0x3e9e377a, v41
	v_fmac_f32_e32 v15, 0x3e9e377a, v41
	v_fmamk_f32 v54, v56, 0x3f737871, v52
	v_add_f32_e32 v41, v0, v61
	v_mov_b32_e32 v0, v59
	v_add_f32_e32 v5, v5, v62
	v_add_nc_u32_e32 v62, 0x1c2, v65
	v_fmac_f32_e32 v52, 0xbf737871, v56
	v_add_nc_u32_e32 v66, 0x384, v65
	v_mad_u64_u32 v[59:60], null, s3, v65, v[0:1]
	v_mad_u64_u32 v[60:61], null, s2, v62, 0
	v_add_f32_e32 v56, v5, v64
	v_add_nc_u32_e32 v64, 0x5a, v90
	v_lshlrev_b64 v[0:1], 3, v[1:2]
	v_add_co_u32 v5, vcc_lo, s10, v46
	v_fmac_f32_e32 v54, 0x3f167918, v12
	v_mov_b32_e32 v2, v61
	v_mul_hi_u32 v61, 0x91a2b3c5, v64
	v_fmac_f32_e32 v52, 0xbf167918, v12
	v_add_co_ci_u32_e32 v12, vcc_lo, s11, v47, vcc_lo
	v_lshlrev_b64 v[46:47], 3, v[58:59]
	v_mad_u64_u32 v[58:59], null, s3, v62, v[2:3]
	v_mad_u64_u32 v[62:63], null, s2, v66, 0
	v_add_co_u32 v67, vcc_lo, v5, v0
	v_lshrrev_b32_e32 v5, 8, v61
	v_add_co_ci_u32_e32 v68, vcc_lo, v12, v1, vcc_lo
	v_add_co_u32 v0, vcc_lo, v67, v46
	v_mov_b32_e32 v2, v63
	v_mul_u32_u24_e32 v63, 0x1c2, v5
	v_add_nc_u32_e32 v12, 0x546, v65
	v_add_co_ci_u32_e32 v1, vcc_lo, v68, v47, vcc_lo
	v_mad_u64_u32 v[46:47], null, s3, v66, v[2:3]
	v_sub_nc_u32_e32 v2, v64, v63
	v_fmac_f32_e32 v54, 0x3e9e377a, v41
	v_mov_b32_e32 v61, v58
	v_mad_u64_u32 v[58:59], null, s2, v12, 0
	v_fmac_f32_e32 v52, 0x3e9e377a, v41
	v_add_nc_u32_e32 v41, 0x708, v65
	v_mad_u32_u24 v65, 0x8ca, v5, v2
	v_mov_b32_e32 v63, v46
	global_store_dwordx2 v[0:1], v[56:57], off
	v_lshlrev_b64 v[0:1], 3, v[60:61]
	v_mad_u64_u32 v[46:47], null, s2, v41, 0
	v_mad_u64_u32 v[56:57], null, s2, v65, 0
	v_mov_b32_e32 v2, v59
	v_add_co_u32 v0, vcc_lo, v67, v0
	v_add_co_ci_u32_e32 v1, vcc_lo, v68, v1, vcc_lo
	v_mad_u64_u32 v[59:60], null, s3, v12, v[2:3]
	v_mov_b32_e32 v2, v47
	v_mov_b32_e32 v5, v57
	v_lshlrev_b64 v[60:61], 3, v[62:63]
	global_store_dwordx2 v[0:1], v[52:53], off
	v_add_nc_u32_e32 v12, 0x384, v65
	v_mad_u64_u32 v[62:63], null, s3, v41, v[2:3]
	v_mad_u64_u32 v[63:64], null, s3, v65, v[5:6]
	v_add_nc_u32_e32 v5, 0x1c2, v65
	v_add_co_u32 v60, vcc_lo, v67, v60
	v_add_co_ci_u32_e32 v61, vcc_lo, v68, v61, vcc_lo
	v_mad_u64_u32 v[52:53], null, s2, v5, 0
	v_mov_b32_e32 v47, v62
	v_mov_b32_e32 v57, v63
	global_store_dwordx2 v[60:61], v[15:16], off
	v_lshlrev_b64 v[0:1], 3, v[58:59]
	v_add_nc_u32_e32 v41, 0xb4, v90
	v_lshlrev_b64 v[15:16], 3, v[46:47]
	v_mov_b32_e32 v2, v53
	v_lshlrev_b64 v[46:47], 3, v[56:57]
	v_add_co_u32 v0, vcc_lo, v67, v0
	v_mad_u64_u32 v[56:57], null, s3, v5, v[2:3]
	v_mad_u64_u32 v[57:58], null, s2, v12, 0
	v_add_co_ci_u32_e32 v1, vcc_lo, v68, v1, vcc_lo
	v_add_co_u32 v15, vcc_lo, v67, v15
	v_mov_b32_e32 v53, v56
	v_add_nc_u32_e32 v56, 0x546, v65
	v_mov_b32_e32 v2, v58
	v_add_co_ci_u32_e32 v16, vcc_lo, v68, v16, vcc_lo
	v_add_co_u32 v46, vcc_lo, v67, v46
	v_mad_u64_u32 v[58:59], null, s3, v12, v[2:3]
	v_mul_hi_u32 v2, 0x91a2b3c5, v41
	v_add_co_ci_u32_e32 v47, vcc_lo, v68, v47, vcc_lo
	v_mad_u64_u32 v[59:60], null, s2, v56, 0
	v_add_nc_u32_e32 v12, 0x708, v65
	global_store_dwordx2 v[0:1], v[6:7], off
	global_store_dwordx2 v[15:16], v[54:55], off
	;; [unrolled: 1-line block ×3, first 2 shown]
	v_lshlrev_b64 v[0:1], 3, v[52:53]
	v_lshrrev_b32_e32 v15, 8, v2
	v_mad_u64_u32 v[61:62], null, s2, v12, 0
	v_mov_b32_e32 v2, v60
	v_mul_u32_u24_e32 v16, 0x1c2, v15
	v_add_co_u32 v0, vcc_lo, v67, v0
	v_add_co_ci_u32_e32 v1, vcc_lo, v68, v1, vcc_lo
	v_mad_u64_u32 v[6:7], null, s3, v56, v[2:3]
	v_sub_nc_u32_e32 v2, v41, v16
	v_mov_b32_e32 v5, v62
	v_mad_u32_u24 v41, 0x8ca, v15, v2
	v_mad_u64_u32 v[10:11], null, s3, v12, v[5:6]
	v_mov_b32_e32 v60, v6
	v_lshlrev_b64 v[11:12], 3, v[57:58]
	v_mad_u64_u32 v[5:6], null, s2, v41, 0
	v_add_nc_u32_e32 v54, 0x1c2, v41
	v_lshlrev_b64 v[15:16], 3, v[59:60]
	v_mov_b32_e32 v62, v10
	v_add_co_u32 v10, vcc_lo, v67, v11
	v_add_co_ci_u32_e32 v11, vcc_lo, v68, v12, vcc_lo
	v_mov_b32_e32 v2, v6
	v_lshlrev_b64 v[46:47], 3, v[61:62]
	v_mad_u64_u32 v[52:53], null, s2, v54, 0
	v_add_co_u32 v15, vcc_lo, v67, v15
	v_mad_u64_u32 v[6:7], null, s3, v41, v[2:3]
	v_add_co_ci_u32_e32 v16, vcc_lo, v68, v16, vcc_lo
	v_add_nc_u32_e32 v12, 0x384, v41
	v_add_co_u32 v46, vcc_lo, v67, v46
	v_add_co_ci_u32_e32 v47, vcc_lo, v68, v47, vcc_lo
	global_store_dwordx2 v[0:1], v[44:45], off
	global_store_dwordx2 v[10:11], v[42:43], off
	;; [unrolled: 1-line block ×4, first 2 shown]
	v_lshlrev_b64 v[0:1], 3, v[5:6]
	v_add_nc_u32_e32 v45, 0x10e, v90
	v_mad_u64_u32 v[5:6], null, s2, v12, 0
	v_mov_b32_e32 v2, v53
	v_add_nc_u32_e32 v43, 0x546, v41
	v_mul_hi_u32 v15, 0x91a2b3c5, v45
	v_add_nc_u32_e32 v46, 0x708, v41
	v_add_co_u32 v0, vcc_lo, v67, v0
	v_mad_u64_u32 v[53:54], null, s3, v54, v[2:3]
	v_mov_b32_e32 v2, v6
	v_mad_u64_u32 v[10:11], null, s2, v43, 0
	v_lshrrev_b32_e32 v47, 8, v15
	v_add_co_ci_u32_e32 v1, vcc_lo, v68, v1, vcc_lo
	v_mad_u64_u32 v[15:16], null, s3, v12, v[2:3]
	v_lshlrev_b64 v[6:7], 3, v[52:53]
	v_mul_u32_u24_e32 v16, 0x1c2, v47
	v_mad_u64_u32 v[41:42], null, s2, v46, 0
	v_mov_b32_e32 v2, v11
	v_add_co_u32 v11, vcc_lo, v67, v6
	v_mov_b32_e32 v6, v15
	v_add_co_ci_u32_e32 v12, vcc_lo, v68, v7, vcc_lo
	v_sub_nc_u32_e32 v7, v45, v16
	v_mad_u64_u32 v[43:44], null, s3, v43, v[2:3]
	global_store_dwordx2 v[0:1], v[39:40], off
	global_store_dwordx2 v[11:12], v[35:36], off
	v_lshlrev_b64 v[1:2], 3, v[5:6]
	v_mov_b32_e32 v0, v42
	v_mad_u32_u24 v44, 0x8ca, v47, v7
	v_mov_b32_e32 v11, v43
	v_mad_u64_u32 v[5:6], null, s3, v46, v[0:1]
	v_mad_u64_u32 v[6:7], null, s2, v44, 0
	v_add_co_u32 v0, vcc_lo, v67, v1
	v_lshlrev_b64 v[10:11], 3, v[10:11]
	v_add_co_ci_u32_e32 v1, vcc_lo, v68, v2, vcc_lo
	v_add_nc_u32_e32 v12, 0x1c2, v44
	v_mov_b32_e32 v42, v5
	v_mov_b32_e32 v2, v7
	v_add_co_u32 v10, vcc_lo, v67, v10
	v_mad_u64_u32 v[15:16], null, s2, v12, 0
	v_lshlrev_b64 v[35:36], 3, v[41:42]
	v_mad_u64_u32 v[39:40], null, s3, v44, v[2:3]
	v_add_co_ci_u32_e32 v11, vcc_lo, v68, v11, vcc_lo
	global_store_dwordx2 v[0:1], v[31:32], off
	global_store_dwordx2 v[10:11], v[37:38], off
	v_add_co_u32 v1, vcc_lo, v67, v35
	v_mov_b32_e32 v0, v16
	v_add_co_ci_u32_e32 v2, vcc_lo, v68, v36, vcc_lo
	v_mov_b32_e32 v7, v39
	v_add_nc_u32_e32 v31, 0x384, v44
	v_mad_u64_u32 v[10:11], null, s3, v12, v[0:1]
	global_store_dwordx2 v[1:2], v[33:34], off
	v_add_nc_u32_e32 v32, 0x546, v44
	v_lshlrev_b64 v[0:1], 3, v[6:7]
	v_mad_u64_u32 v[5:6], null, s2, v31, 0
	v_add_nc_u32_e32 v36, 0x168, v90
	v_mad_u64_u32 v[11:12], null, s2, v32, 0
	v_mov_b32_e32 v16, v10
	v_add_co_u32 v0, vcc_lo, v67, v0
	v_mov_b32_e32 v2, v6
	v_add_co_ci_u32_e32 v1, vcc_lo, v68, v1, vcc_lo
	v_lshlrev_b64 v[6:7], 3, v[15:16]
	v_mov_b32_e32 v10, v12
	v_mad_u64_u32 v[15:16], null, s3, v31, v[2:3]
	v_add_nc_u32_e32 v16, 0x708, v44
	v_mul_hi_u32 v2, 0x91a2b3c5, v36
	v_mad_u64_u32 v[31:32], null, s3, v32, v[10:11]
	v_add_co_u32 v34, vcc_lo, v67, v6
	v_mad_u64_u32 v[32:33], null, s2, v16, 0
	v_mov_b32_e32 v6, v15
	v_add_co_ci_u32_e32 v35, vcc_lo, v68, v7, vcc_lo
	v_lshrrev_b32_e32 v7, 8, v2
	global_store_dwordx2 v[0:1], v[29:30], off
	v_lshlrev_b64 v[1:2], 3, v[5:6]
	v_mov_b32_e32 v12, v31
	v_mov_b32_e32 v0, v33
	v_mul_u32_u24_e32 v15, 0x1c2, v7
	global_store_dwordx2 v[34:35], v[25:26], off
	v_lshlrev_b64 v[5:6], 3, v[11:12]
	v_mad_u64_u32 v[10:11], null, s3, v16, v[0:1]
	v_sub_nc_u32_e32 v11, v36, v15
	v_add_co_u32 v0, vcc_lo, v67, v1
	v_add_co_ci_u32_e32 v1, vcc_lo, v68, v2, vcc_lo
	v_mad_u32_u24 v25, 0x8ca, v7, v11
	v_mov_b32_e32 v33, v10
	v_add_co_u32 v5, vcc_lo, v67, v5
	v_add_co_ci_u32_e32 v6, vcc_lo, v68, v6, vcc_lo
	v_mad_u64_u32 v[10:11], null, s2, v25, 0
	v_add_nc_u32_e32 v7, 0x1c2, v25
	v_add_nc_u32_e32 v26, 0x384, v25
	global_store_dwordx2 v[0:1], v[23:24], off
	global_store_dwordx2 v[5:6], v[27:28], off
	v_lshlrev_b64 v[0:1], 3, v[32:33]
	v_mad_u64_u32 v[5:6], null, s2, v7, 0
	v_mov_b32_e32 v2, v11
	v_mad_u64_u32 v[15:16], null, s2, v26, 0
	v_add_co_u32 v0, vcc_lo, v67, v0
	v_mad_u64_u32 v[11:12], null, s3, v25, v[2:3]
	v_add_nc_u32_e32 v12, 0x546, v25
	v_mad_u64_u32 v[6:7], null, s3, v7, v[6:7]
	v_mov_b32_e32 v2, v16
	v_add_nc_u32_e32 v7, 0x708, v25
	v_mad_u64_u32 v[23:24], null, s2, v12, 0
	v_add_co_ci_u32_e32 v1, vcc_lo, v68, v1, vcc_lo
	v_mad_u64_u32 v[25:26], null, s3, v26, v[2:3]
	v_mad_u64_u32 v[26:27], null, s2, v7, 0
	global_store_dwordx2 v[0:1], v[21:22], off
	v_lshlrev_b64 v[1:2], 3, v[10:11]
	v_mov_b32_e32 v0, v24
	v_lshlrev_b64 v[5:6], 3, v[5:6]
	v_mov_b32_e32 v16, v25
	v_mad_u64_u32 v[10:11], null, s3, v12, v[0:1]
	v_mov_b32_e32 v0, v27
	v_add_co_u32 v1, vcc_lo, v67, v1
	v_lshlrev_b64 v[15:16], 3, v[15:16]
	v_add_co_ci_u32_e32 v2, vcc_lo, v68, v2, vcc_lo
	v_mad_u64_u32 v[11:12], null, s3, v7, v[0:1]
	v_mov_b32_e32 v24, v10
	v_add_co_u32 v5, vcc_lo, v67, v5
	v_add_co_ci_u32_e32 v6, vcc_lo, v68, v6, vcc_lo
	v_lshlrev_b64 v[21:22], 3, v[23:24]
	v_mov_b32_e32 v27, v11
	v_add_co_u32 v10, vcc_lo, v67, v15
	v_add_co_ci_u32_e32 v11, vcc_lo, v68, v16, vcc_lo
	v_lshlrev_b64 v[15:16], 3, v[26:27]
	v_add_co_u32 v21, vcc_lo, v67, v21
	v_add_co_ci_u32_e32 v22, vcc_lo, v68, v22, vcc_lo
	v_add_co_u32 v15, vcc_lo, v67, v15
	v_add_co_ci_u32_e32 v16, vcc_lo, v68, v16, vcc_lo
	global_store_dwordx2 v[1:2], v[8:9], off
	global_store_dwordx2 v[5:6], v[13:14], off
	;; [unrolled: 1-line block ×5, first 2 shown]
.LBB0_37:
	s_endpgm
	.section	.rodata,"a",@progbits
	.p2align	6, 0x0
	.amdhsa_kernel fft_rtc_back_len2250_factors_10_3_5_3_5_wgs_90_tpt_90_halfLds_sp_op_CI_CI_sbrr_dirReg
		.amdhsa_group_segment_fixed_size 0
		.amdhsa_private_segment_fixed_size 0
		.amdhsa_kernarg_size 104
		.amdhsa_user_sgpr_count 6
		.amdhsa_user_sgpr_private_segment_buffer 1
		.amdhsa_user_sgpr_dispatch_ptr 0
		.amdhsa_user_sgpr_queue_ptr 0
		.amdhsa_user_sgpr_kernarg_segment_ptr 1
		.amdhsa_user_sgpr_dispatch_id 0
		.amdhsa_user_sgpr_flat_scratch_init 0
		.amdhsa_user_sgpr_private_segment_size 0
		.amdhsa_wavefront_size32 1
		.amdhsa_uses_dynamic_stack 0
		.amdhsa_system_sgpr_private_segment_wavefront_offset 0
		.amdhsa_system_sgpr_workgroup_id_x 1
		.amdhsa_system_sgpr_workgroup_id_y 0
		.amdhsa_system_sgpr_workgroup_id_z 0
		.amdhsa_system_sgpr_workgroup_info 0
		.amdhsa_system_vgpr_workitem_id 0
		.amdhsa_next_free_vgpr 142
		.amdhsa_next_free_sgpr 31
		.amdhsa_reserve_vcc 1
		.amdhsa_reserve_flat_scratch 0
		.amdhsa_float_round_mode_32 0
		.amdhsa_float_round_mode_16_64 0
		.amdhsa_float_denorm_mode_32 3
		.amdhsa_float_denorm_mode_16_64 3
		.amdhsa_dx10_clamp 1
		.amdhsa_ieee_mode 1
		.amdhsa_fp16_overflow 0
		.amdhsa_workgroup_processor_mode 1
		.amdhsa_memory_ordered 1
		.amdhsa_forward_progress 0
		.amdhsa_shared_vgpr_count 0
		.amdhsa_exception_fp_ieee_invalid_op 0
		.amdhsa_exception_fp_denorm_src 0
		.amdhsa_exception_fp_ieee_div_zero 0
		.amdhsa_exception_fp_ieee_overflow 0
		.amdhsa_exception_fp_ieee_underflow 0
		.amdhsa_exception_fp_ieee_inexact 0
		.amdhsa_exception_int_div_zero 0
	.end_amdhsa_kernel
	.text
.Lfunc_end0:
	.size	fft_rtc_back_len2250_factors_10_3_5_3_5_wgs_90_tpt_90_halfLds_sp_op_CI_CI_sbrr_dirReg, .Lfunc_end0-fft_rtc_back_len2250_factors_10_3_5_3_5_wgs_90_tpt_90_halfLds_sp_op_CI_CI_sbrr_dirReg
                                        ; -- End function
	.section	.AMDGPU.csdata,"",@progbits
; Kernel info:
; codeLenInByte = 19088
; NumSgprs: 33
; NumVgprs: 142
; ScratchSize: 0
; MemoryBound: 0
; FloatMode: 240
; IeeeMode: 1
; LDSByteSize: 0 bytes/workgroup (compile time only)
; SGPRBlocks: 4
; VGPRBlocks: 17
; NumSGPRsForWavesPerEU: 33
; NumVGPRsForWavesPerEU: 142
; Occupancy: 7
; WaveLimiterHint : 1
; COMPUTE_PGM_RSRC2:SCRATCH_EN: 0
; COMPUTE_PGM_RSRC2:USER_SGPR: 6
; COMPUTE_PGM_RSRC2:TRAP_HANDLER: 0
; COMPUTE_PGM_RSRC2:TGID_X_EN: 1
; COMPUTE_PGM_RSRC2:TGID_Y_EN: 0
; COMPUTE_PGM_RSRC2:TGID_Z_EN: 0
; COMPUTE_PGM_RSRC2:TIDIG_COMP_CNT: 0
	.text
	.p2alignl 6, 3214868480
	.fill 48, 4, 3214868480
	.type	__hip_cuid_25a29a8d2ee0632d,@object ; @__hip_cuid_25a29a8d2ee0632d
	.section	.bss,"aw",@nobits
	.globl	__hip_cuid_25a29a8d2ee0632d
__hip_cuid_25a29a8d2ee0632d:
	.byte	0                               ; 0x0
	.size	__hip_cuid_25a29a8d2ee0632d, 1

	.ident	"AMD clang version 19.0.0git (https://github.com/RadeonOpenCompute/llvm-project roc-6.4.0 25133 c7fe45cf4b819c5991fe208aaa96edf142730f1d)"
	.section	".note.GNU-stack","",@progbits
	.addrsig
	.addrsig_sym __hip_cuid_25a29a8d2ee0632d
	.amdgpu_metadata
---
amdhsa.kernels:
  - .args:
      - .actual_access:  read_only
        .address_space:  global
        .offset:         0
        .size:           8
        .value_kind:     global_buffer
      - .offset:         8
        .size:           8
        .value_kind:     by_value
      - .actual_access:  read_only
        .address_space:  global
        .offset:         16
        .size:           8
        .value_kind:     global_buffer
      - .actual_access:  read_only
        .address_space:  global
        .offset:         24
        .size:           8
        .value_kind:     global_buffer
      - .actual_access:  read_only
        .address_space:  global
        .offset:         32
        .size:           8
        .value_kind:     global_buffer
      - .offset:         40
        .size:           8
        .value_kind:     by_value
      - .actual_access:  read_only
        .address_space:  global
        .offset:         48
        .size:           8
        .value_kind:     global_buffer
      - .actual_access:  read_only
        .address_space:  global
        .offset:         56
        .size:           8
        .value_kind:     global_buffer
      - .offset:         64
        .size:           4
        .value_kind:     by_value
      - .actual_access:  read_only
        .address_space:  global
        .offset:         72
        .size:           8
        .value_kind:     global_buffer
      - .actual_access:  read_only
        .address_space:  global
        .offset:         80
        .size:           8
        .value_kind:     global_buffer
      - .actual_access:  read_only
        .address_space:  global
        .offset:         88
        .size:           8
        .value_kind:     global_buffer
      - .actual_access:  write_only
        .address_space:  global
        .offset:         96
        .size:           8
        .value_kind:     global_buffer
    .group_segment_fixed_size: 0
    .kernarg_segment_align: 8
    .kernarg_segment_size: 104
    .language:       OpenCL C
    .language_version:
      - 2
      - 0
    .max_flat_workgroup_size: 90
    .name:           fft_rtc_back_len2250_factors_10_3_5_3_5_wgs_90_tpt_90_halfLds_sp_op_CI_CI_sbrr_dirReg
    .private_segment_fixed_size: 0
    .sgpr_count:     33
    .sgpr_spill_count: 0
    .symbol:         fft_rtc_back_len2250_factors_10_3_5_3_5_wgs_90_tpt_90_halfLds_sp_op_CI_CI_sbrr_dirReg.kd
    .uniform_work_group_size: 1
    .uses_dynamic_stack: false
    .vgpr_count:     142
    .vgpr_spill_count: 0
    .wavefront_size: 32
    .workgroup_processor_mode: 1
amdhsa.target:   amdgcn-amd-amdhsa--gfx1030
amdhsa.version:
  - 1
  - 2
...

	.end_amdgpu_metadata
